;; amdgpu-corpus repo=ROCm/rocFFT kind=compiled arch=gfx950 opt=O3
	.text
	.amdgcn_target "amdgcn-amd-amdhsa--gfx950"
	.amdhsa_code_object_version 6
	.protected	bluestein_single_back_len1820_dim1_sp_op_CI_CI ; -- Begin function bluestein_single_back_len1820_dim1_sp_op_CI_CI
	.globl	bluestein_single_back_len1820_dim1_sp_op_CI_CI
	.p2align	8
	.type	bluestein_single_back_len1820_dim1_sp_op_CI_CI,@function
bluestein_single_back_len1820_dim1_sp_op_CI_CI: ; @bluestein_single_back_len1820_dim1_sp_op_CI_CI
; %bb.0:
	s_load_dwordx4 s[8:11], s[0:1], 0x28
	v_mul_u32_u24_e32 v1, 0x169, v0
	v_add_u32_sdwa v8, s2, v1 dst_sel:DWORD dst_unused:UNUSED_PAD src0_sel:DWORD src1_sel:WORD_1
	v_mov_b32_e32 v9, 0
	s_waitcnt lgkmcnt(0)
	v_cmp_gt_u64_e32 vcc, s[8:9], v[8:9]
	s_and_saveexec_b64 s[2:3], vcc
	s_cbranch_execz .LBB0_24
; %bb.1:
	s_load_dwordx4 s[4:7], s[0:1], 0x18
	s_load_dwordx4 s[12:15], s[0:1], 0x0
	v_mov_b32_e32 v2, s10
	v_mov_b32_e32 v3, s11
	s_movk_i32 s2, 0xb6
	s_waitcnt lgkmcnt(0)
	s_load_dwordx4 s[8:11], s[4:5], 0x0
	v_mul_lo_u16_sdwa v1, v1, s2 dst_sel:DWORD dst_unused:UNUSED_PAD src0_sel:WORD_1 src1_sel:DWORD
	v_sub_u16_e32 v46, v0, v1
	v_mov_b32_e32 v24, 0x5b0
	v_lshlrev_b32_e32 v92, 3, v46
	s_waitcnt lgkmcnt(0)
	v_mad_u64_u32 v[0:1], s[2:3], s10, v8, 0
	v_mov_b32_e32 v4, v1
	v_mad_u64_u32 v[4:5], s[2:3], s11, v8, v[4:5]
	v_mov_b32_e32 v1, v4
	v_mad_u64_u32 v[4:5], s[2:3], s8, v46, 0
	v_mov_b32_e32 v6, v5
	v_mad_u64_u32 v[6:7], s[2:3], s9, v46, v[6:7]
	v_mov_b32_e32 v5, v6
	v_lshl_add_u64 v[0:1], v[0:1], 3, v[2:3]
	v_lshl_add_u64 v[0:1], v[4:5], 3, v[0:1]
	global_load_dwordx2 v[2:3], v[0:1], off
	v_mad_u64_u32 v[0:1], s[2:3], s8, v24, v[0:1]
	s_mul_i32 s4, s9, 0x5b0
	v_add_u32_e32 v1, s4, v1
	v_mad_u64_u32 v[6:7], s[2:3], s8, v24, v[0:1]
	v_add_u32_e32 v7, s4, v7
	v_accvgpr_write_b32 a4, v8
	v_mov_b32_e32 v93, v9
	v_mad_u64_u32 v[8:9], s[2:3], s8, v24, v[6:7]
	v_lshl_add_u64 v[4:5], s[12:13], 0, v[92:93]
	v_add_u32_e32 v9, s4, v9
	s_movk_i32 s2, 0x1000
	v_add_co_u32_e32 v10, vcc, s2, v4
	v_mad_u64_u32 v[12:13], s[2:3], s8, v24, v[8:9]
	v_add_u32_e32 v13, s4, v13
	global_load_dwordx2 v[44:45], v92, s[12:13]
	global_load_dwordx2 v[42:43], v92, s[12:13] offset:1456
	global_load_dwordx2 v[34:35], v92, s[12:13] offset:2912
	v_addc_co_u32_e32 v11, vcc, 0, v5, vcc
	global_load_dwordx2 v[14:15], v[0:1], off
	global_load_dwordx2 v[16:17], v[6:7], off
	;; [unrolled: 1-line block ×4, first 2 shown]
	global_load_dwordx2 v[40:41], v[10:11], off offset:272
	global_load_dwordx2 v[32:33], v[10:11], off offset:1728
	v_mad_u64_u32 v[0:1], s[2:3], s8, v24, v[12:13]
	v_add_u32_e32 v1, s4, v1
	global_load_dwordx2 v[6:7], v[0:1], off
	v_mad_u64_u32 v[0:1], s[2:3], s8, v24, v[0:1]
	v_add_u32_e32 v1, s4, v1
	s_movk_i32 s2, 0x2000
	global_load_dwordx2 v[8:9], v[0:1], off
	v_add_co_u32_e32 v12, vcc, s2, v4
	v_mad_u64_u32 v[0:1], s[2:3], s8, v24, v[0:1]
	v_add_u32_e32 v1, s4, v1
	v_addc_co_u32_e32 v13, vcc, 0, v5, vcc
	global_load_dwordx2 v[38:39], v[10:11], off offset:3184
	global_load_dwordx2 v[30:31], v[12:13], off offset:544
	s_mov_b32 s18, 0x3f4f1bbd
	global_load_dwordx2 v[10:11], v[0:1], off
	v_mad_u64_u32 v[0:1], s[2:3], s8, v24, v[0:1]
	v_add_u32_e32 v1, s4, v1
	global_load_dwordx2 v[22:23], v[0:1], off
	global_load_dwordx2 v[36:37], v[12:13], off offset:2000
	global_load_dwordx2 v[26:27], v[12:13], off offset:3456
	v_mad_u64_u32 v[0:1], s[2:3], s8, v24, v[0:1]
	s_movk_i32 s2, 0x3000
	s_nop 0
	v_add_co_u32_e32 v4, vcc, s2, v4
	v_add_u32_e32 v1, s4, v1
	s_nop 0
	v_addc_co_u32_e32 v5, vcc, 0, v5, vcc
	global_load_dwordx2 v[28:29], v[4:5], off offset:816
	global_load_dwordx2 v[24:25], v[0:1], off
	v_add_u32_e32 v13, 0xa00, v92
	v_add_u32_e32 v12, 0x2000, v92
	s_load_dwordx4 s[8:11], s[6:7], 0x0
	s_mov_b32 s2, 0x3f737871
	s_mov_b32 s3, 0xbf737871
	;; [unrolled: 1-line block ×5, first 2 shown]
	s_load_dwordx2 s[16:17], s[0:1], 0x38
	s_movk_i32 s0, 0x8b
	v_accvgpr_write_b32 a5, v46
                                        ; implicit-def: $vgpr50
                                        ; implicit-def: $vgpr48
                                        ; implicit-def: $vgpr52
                                        ; implicit-def: $vgpr54
	s_waitcnt vmcnt(18)
	v_accvgpr_write_b32 a20, v44
	v_mul_f32_e32 v0, v3, v45
	v_mul_f32_e32 v1, v2, v45
	v_fmac_f32_e32 v0, v2, v44
	v_fma_f32 v1, v3, v44, -v1
	s_waitcnt vmcnt(15)
	v_mul_f32_e32 v2, v15, v43
	v_mul_f32_e32 v3, v14, v43
	v_fmac_f32_e32 v2, v14, v42
	v_fma_f32 v3, v15, v42, -v3
	ds_write2_b64 v92, v[0:1], v[2:3] offset1:182
	s_waitcnt vmcnt(14)
	v_mul_f32_e32 v0, v17, v35
	v_mul_f32_e32 v1, v16, v35
	s_waitcnt vmcnt(11)
	v_mul_f32_e32 v2, v19, v41
	v_mul_f32_e32 v3, v18, v41
	v_fmac_f32_e32 v0, v16, v34
	v_fma_f32 v1, v17, v34, -v1
	v_fmac_f32_e32 v2, v18, v40
	v_fma_f32 v3, v19, v40, -v3
	ds_write2_b64 v13, v[0:1], v[2:3] offset0:44 offset1:226
	s_waitcnt vmcnt(10)
	v_mul_f32_e32 v0, v21, v33
	v_mul_f32_e32 v1, v20, v33
	s_waitcnt vmcnt(7)
	v_mul_f32_e32 v2, v7, v39
	v_mul_f32_e32 v3, v6, v39
	v_fmac_f32_e32 v0, v20, v32
	v_fma_f32 v1, v21, v32, -v1
	v_fmac_f32_e32 v2, v6, v38
	v_fma_f32 v3, v7, v38, -v3
	v_add_u32_e32 v14, 0x1600, v92
	ds_write2_b64 v14, v[0:1], v[2:3] offset0:24 offset1:206
	s_waitcnt vmcnt(6)
	v_mul_f32_e32 v0, v9, v31
	v_mul_f32_e32 v1, v8, v31
	s_waitcnt vmcnt(3)
	v_mul_f32_e32 v2, v11, v37
	v_mul_f32_e32 v3, v10, v37
	v_fmac_f32_e32 v0, v8, v30
	v_fma_f32 v1, v9, v30, -v1
	v_fmac_f32_e32 v2, v10, v36
	v_fma_f32 v3, v11, v36, -v3
	ds_write2_b64 v12, v[0:1], v[2:3] offset0:68 offset1:250
	s_waitcnt vmcnt(2)
	v_mul_f32_e32 v0, v23, v27
	v_mul_f32_e32 v1, v22, v27
	s_waitcnt vmcnt(0)
	v_mul_f32_e32 v2, v25, v29
	v_mul_f32_e32 v3, v24, v29
	v_fmac_f32_e32 v0, v22, v26
	v_fma_f32 v1, v23, v26, -v1
	v_fmac_f32_e32 v2, v24, v28
	v_fma_f32 v3, v25, v28, -v3
	v_add_u32_e32 v18, 0x2c00, v92
	ds_write2_b64 v18, v[0:1], v[2:3] offset0:48 offset1:230
	s_waitcnt lgkmcnt(0)
	s_barrier
	ds_read2_b64 v[0:3], v12 offset0:68 offset1:250
	ds_read2_b64 v[4:7], v92 offset1:182
	ds_read2_b64 v[8:11], v13 offset0:44 offset1:226
	ds_read2_b64 v[14:17], v14 offset0:24 offset1:206
	;; [unrolled: 1-line block ×3, first 2 shown]
	v_accvgpr_write_b32 a10, v34
	v_accvgpr_write_b32 a18, v42
	s_waitcnt lgkmcnt(2)
	v_pk_add_f32 v[22:23], v[4:5], v[8:9]
	v_accvgpr_write_b32 a11, v35
	v_accvgpr_write_b32 a6, v30
	s_waitcnt lgkmcnt(1)
	v_pk_add_f32 v[22:23], v[22:23], v[14:15]
	v_pk_add_f32 v[34:35], v[6:7], v[10:11]
	v_accvgpr_write_b32 a19, v43
	v_accvgpr_write_b32 a8, v32
	;; [unrolled: 1-line block ×7, first 2 shown]
	v_pk_add_f32 v[24:25], v[14:15], v[0:1]
	v_pk_add_f32 v[22:23], v[22:23], v[0:1]
	v_pk_add_f32 v[30:31], v[16:17], v[2:3] op_sel:[1,1] op_sel_hi:[0,0]
	v_pk_add_f32 v[34:35], v[34:35], v[16:17]
	s_waitcnt lgkmcnt(0)
	v_pk_add_f32 v[42:43], v[8:9], v[18:19] neg_lo:[0,1] neg_hi:[0,1]
	v_accvgpr_write_b32 a21, v45
	v_accvgpr_write_b32 a16, v40
	;; [unrolled: 1-line block ×7, first 2 shown]
	v_pk_add_f32 v[26:27], v[14:15], v[0:1] neg_lo:[0,1] neg_hi:[0,1]
	v_pk_add_f32 v[28:29], v[18:19], v[0:1] neg_lo:[0,1] neg_hi:[0,1]
	;; [unrolled: 1-line block ×3, first 2 shown]
	v_pk_add_f32 v[34:35], v[34:35], v[2:3]
	v_pk_add_f32 v[36:37], v[20:21], v[2:3] op_sel:[1,1] op_sel_hi:[0,0] neg_lo:[0,1] neg_hi:[0,1]
	v_pk_add_f32 v[0:1], v[0:1], v[18:19] neg_lo:[0,1] neg_hi:[0,1]
	v_pk_add_f32 v[38:39], v[2:3], v[20:21] op_sel:[1,1] op_sel_hi:[0,0] neg_lo:[0,1] neg_hi:[0,1]
	v_pk_add_f32 v[2:3], v[8:9], v[14:15] neg_lo:[0,1] neg_hi:[0,1]
	v_pk_add_f32 v[14:15], v[14:15], v[8:9] neg_lo:[0,1] neg_hi:[0,1]
	v_pk_add_f32 v[44:45], v[10:11], v[20:21] neg_lo:[0,1] neg_hi:[0,1]
	v_pk_add_f32 v[8:9], v[8:9], v[18:19]
	v_pk_add_f32 v[18:19], v[22:23], v[18:19]
	v_pk_fma_f32 v[22:23], v[24:25], 0.5, v[4:5] op_sel_hi:[1,0,1] neg_lo:[1,0,0] neg_hi:[1,0,0]
	v_pk_mul_f32 v[24:25], v[42:43], s[2:3] op_sel_hi:[1,0]
	v_pk_fma_f32 v[30:31], v[30:31], 0.5, v[6:7] op_sel:[0,0,1] op_sel_hi:[1,0,0] neg_lo:[1,0,0] neg_hi:[1,0,0]
	v_accvgpr_write_b32 a17, v41
	v_pk_add_f32 v[40:41], v[10:11], v[16:17] op_sel:[1,1] op_sel_hi:[0,0] neg_lo:[0,1] neg_hi:[0,1]
	v_pk_add_f32 v[16:17], v[16:17], v[10:11] op_sel:[1,1] op_sel_hi:[0,0] neg_lo:[0,1] neg_hi:[0,1]
	v_pk_add_f32 v[10:11], v[10:11], v[20:21] op_sel:[1,1] op_sel_hi:[0,0]
	v_pk_add_f32 v[20:21], v[34:35], v[20:21]
	v_pk_add_f32 v[2:3], v[2:3], v[28:29]
	v_pk_add_f32 v[28:29], v[22:23], v[24:25] op_sel:[0,1] op_sel_hi:[1,0] neg_lo:[0,1] neg_hi:[0,1]
	v_pk_add_f32 v[22:23], v[22:23], v[24:25] op_sel:[0,1] op_sel_hi:[1,0]
	v_pk_mul_f32 v[24:25], v[26:27], s[4:5] op_sel_hi:[1,0]
	v_pk_fma_f32 v[34:35], v[44:45], s[2:3], v[30:31] op_sel_hi:[1,0,1]
	v_pk_fma_f32 v[30:31], v[44:45], s[2:3], v[30:31] op_sel_hi:[1,0,1] neg_lo:[1,0,0] neg_hi:[1,0,0]
	v_pk_add_f32 v[22:23], v[22:23], v[24:25] op_sel:[0,1] op_sel_hi:[1,0]
	v_pk_add_f32 v[24:25], v[28:29], v[24:25] op_sel:[0,1] op_sel_hi:[1,0] neg_lo:[0,1] neg_hi:[0,1]
	v_pk_add_f32 v[28:29], v[40:41], v[36:37]
	v_pk_fma_f32 v[34:35], v[32:33], s[4:5], v[34:35] op_sel_hi:[1,0,1]
	v_pk_fma_f32 v[30:31], v[32:33], s[4:5], v[30:31] op_sel_hi:[1,0,1] neg_lo:[1,0,0] neg_hi:[1,0,0]
	v_pk_fma_f32 v[36:37], v[28:29], s[6:7], v[34:35] op_sel_hi:[1,0,1]
	v_mov_b32_e32 v35, v31
	v_pk_fma_f32 v[30:31], v[28:29], s[6:7], v[30:31] op_sel_hi:[1,0,1]
	v_pk_fma_f32 v[28:29], v[28:29], s[6:7], v[34:35] op_sel_hi:[1,0,1]
	v_mov_b32_e32 v34, v24
	v_mov_b32_e32 v35, v23
	;; [unrolled: 1-line block ×3, first 2 shown]
	v_pk_fma_f32 v[24:25], v[2:3], s[6:7], v[34:35] op_sel_hi:[1,0,1]
	v_pk_fma_f32 v[22:23], v[2:3], s[6:7], v[22:23] op_sel_hi:[1,0,1]
	v_pk_mul_f32 v[2:3], v[36:37], s[18:19] op_sel:[1,0]
	s_mov_b32 s5, s18
	v_pk_fma_f32 v[34:35], v[30:31], s[4:5], v[2:3]
	v_pk_fma_f32 v[2:3], v[30:31], s[4:5], v[2:3] op_sel_hi:[0,1,1] neg_lo:[0,0,1] neg_hi:[0,0,1]
	v_mov_b32_e32 v35, v3
	v_pk_add_f32 v[14:15], v[14:15], v[0:1]
	v_pk_fma_f32 v[0:1], v[8:9], 0.5, v[4:5] op_sel_hi:[1,0,1] neg_lo:[1,0,0] neg_hi:[1,0,0]
	v_pk_mul_f32 v[2:3], v[26:27], s[2:3] op_sel_hi:[1,0]
	v_pk_fma_f32 v[6:7], v[10:11], 0.5, v[6:7] op_sel:[0,0,1] op_sel_hi:[1,0,0] neg_lo:[1,0,0] neg_hi:[1,0,0]
	v_pk_add_f32 v[4:5], v[0:1], v[2:3] op_sel:[0,1] op_sel_hi:[1,0]
	v_pk_add_f32 v[8:9], v[0:1], v[2:3] op_sel:[0,1] op_sel_hi:[1,0] neg_lo:[0,1] neg_hi:[0,1]
	v_pk_mul_f32 v[10:11], v[42:43], s[4:5] op_sel_hi:[1,0]
	v_mul_lo_u16_e32 v13, 10, v46
	v_pk_add_f32 v[8:9], v[8:9], v[10:11] op_sel:[0,1] op_sel_hi:[1,0]
	v_pk_add_f32 v[4:5], v[4:5], v[10:11] op_sel:[0,1] op_sel_hi:[1,0] neg_lo:[0,1] neg_hi:[0,1]
	v_mov_b32_e32 v11, v9
	v_mov_b32_e32 v10, v4
	v_pk_fma_f32 v[26:27], v[14:15], s[6:7], v[10:11] op_sel_hi:[1,0,1]
	v_pk_add_f32 v[10:11], v[16:17], v[38:39]
	v_pk_fma_f32 v[16:17], v[32:33], s[2:3], v[6:7] op_sel_hi:[1,0,1] neg_lo:[1,0,0] neg_hi:[1,0,0]
	v_pk_fma_f32 v[6:7], v[32:33], s[2:3], v[6:7] op_sel_hi:[1,0,1]
	v_pk_fma_f32 v[16:17], v[44:45], s[4:5], v[16:17] op_sel_hi:[1,0,1]
	v_pk_fma_f32 v[6:7], v[44:45], s[4:5], v[6:7] op_sel_hi:[1,0,1] neg_lo:[1,0,0] neg_hi:[1,0,0]
	v_mov_b32_e32 v9, v5
	v_mov_b32_e32 v31, v7
	;; [unrolled: 1-line block ×3, first 2 shown]
	v_pk_fma_f32 v[4:5], v[10:11], s[6:7], v[6:7] op_sel_hi:[1,0,1]
	v_mov_b32_e32 v30, v16
	v_pk_mul_f32 v[6:7], v[4:5], s[2:3] op_sel_hi:[1,0]
	v_pk_fma_f32 v[30:31], v[10:11], s[6:7], v[30:31] op_sel_hi:[1,0,1]
	v_pk_fma_f32 v[14:15], v[14:15], s[6:7], v[8:9] op_sel_hi:[1,0,1]
	v_pk_fma_f32 v[8:9], v[4:5], s[6:7], v[6:7] op_sel:[0,0,1] op_sel_hi:[1,0,0]
	v_pk_fma_f32 v[4:5], v[4:5], s[6:7], v[6:7] op_sel:[0,0,1] op_sel_hi:[1,0,0] neg_lo:[0,0,1] neg_hi:[0,0,1]
	v_mov_b32_e32 v16, v9
	v_pk_mul_f32 v[6:7], v[30:31], s[6:7] op_sel_hi:[1,0]
	s_mov_b32 s5, 0xbf167918
	v_pk_mul_f32 v[8:9], v[28:29], s[18:19] op_sel_hi:[1,0]
	v_mov_b32_e32 v17, v4
	v_pk_fma_f32 v[30:31], v[30:31], s[2:3], v[6:7] op_sel:[0,0,1] op_sel_hi:[1,1,0] neg_lo:[0,0,1] neg_hi:[0,0,1]
	v_pk_fma_f32 v[28:29], v[28:29], s[4:5], v[8:9] op_sel:[0,0,1] op_sel_hi:[1,1,0] neg_lo:[0,0,1] neg_hi:[0,0,1]
	v_cmp_lt_u16_e64 s[2:3], s0, v46
	s_movk_i32 s0, 0x8c
	v_pk_add_f32 v[0:1], v[18:19], v[20:21]
	v_pk_add_f32 v[2:3], v[22:23], v[34:35]
	;; [unrolled: 1-line block ×5, first 2 shown]
	v_pk_add_f32 v[10:11], v[18:19], v[20:21] neg_lo:[0,1] neg_hi:[0,1]
	v_pk_add_f32 v[32:33], v[22:23], v[34:35] neg_lo:[0,1] neg_hi:[0,1]
	;; [unrolled: 1-line block ×5, first 2 shown]
	v_lshlrev_b32_e32 v208, 3, v13
	v_cmp_gt_u16_e32 vcc, s0, v46
	s_barrier
	ds_write_b128 v208, v[0:3]
	ds_write_b128 v208, v[4:7] offset:16
	ds_write_b128 v208, v[8:11] offset:32
	;; [unrolled: 1-line block ×4, first 2 shown]
	s_waitcnt lgkmcnt(0)
	s_barrier
	s_waitcnt lgkmcnt(0)
                                        ; implicit-def: $vgpr40
	s_and_saveexec_b64 s[0:1], vcc
	s_cbranch_execz .LBB0_3
; %bb.2:
	v_add_u32_e32 v4, 0x800, v92
	v_add_u32_e32 v8, 0x1000, v92
	ds_read2_b64 v[0:3], v92 offset1:140
	ds_read2_b64 v[4:7], v4 offset0:24 offset1:164
	ds_read2_b64 v[8:11], v8 offset0:48 offset1:188
	v_add_u32_e32 v14, 0x2a00, v92
	v_add_u32_e32 v13, 0x1800, v92
	ds_read2_b64 v[40:43], v14 offset0:56 offset1:196
	ds_read_b64 v[48:49], v92 offset:13440
	ds_read2_b64 v[32:35], v13 offset0:72 offset1:212
	ds_read2_b64 v[36:39], v12 offset0:96 offset1:236
	s_waitcnt lgkmcnt(3)
	v_mov_b32_e32 v50, v41
	s_waitcnt lgkmcnt(2)
	v_mov_b32_e32 v52, v49
	v_mov_b32_e32 v54, v43
.LBB0_3:
	s_or_b64 exec, exec, s[0:1]
	s_movk_i32 s0, 0xcd
	v_accvgpr_read_b32 v13, a5
	v_mul_lo_u16_sdwa v12, v13, s0 dst_sel:DWORD dst_unused:UNUSED_PAD src0_sel:BYTE_0 src1_sel:DWORD
	v_lshrrev_b16_e32 v12, 11, v12
	v_accvgpr_write_b32 a22, v12
	v_mul_lo_u16_e32 v12, 10, v12
	v_sub_u16_e32 v12, v13, v12
	v_and_b32_e32 v12, 0xff, v12
	v_accvgpr_write_b32 a23, v12
	v_mul_u32_u24_e32 v12, 12, v12
	v_lshlrev_b32_e32 v41, 3, v12
	global_load_dwordx4 v[20:23], v41, s[14:15] offset:16
	global_load_dwordx4 v[16:19], v41, s[14:15] offset:32
	;; [unrolled: 1-line block ×4, first 2 shown]
	global_load_dwordx4 v[28:31], v41, s[14:15]
	global_load_dwordx4 v[44:47], v41, s[14:15] offset:80
	s_mov_b32 s26, 0xbeedf032
	s_mov_b32 s0, 0x3f62ad3f
	;; [unrolled: 1-line block ×15, first 2 shown]
	s_waitcnt lgkmcnt(0)
	s_barrier
	s_waitcnt vmcnt(5)
	v_pk_mul_f32 v[58:59], v[8:9], v[22:23] op_sel:[1,0]
	s_waitcnt vmcnt(4)
	v_pk_mul_f32 v[62:63], v[10:11], v[16:17] op_sel:[1,0]
	;; [unrolled: 2-line block ×3, first 2 shown]
	s_waitcnt vmcnt(2)
	v_pk_mul_f32 v[50:51], v[50:51], v[26:27] op_sel_hi:[0,1]
	s_waitcnt vmcnt(1)
	v_pk_mul_f32 v[76:77], v[2:3], v[28:29] op_sel:[1,1] op_sel_hi:[1,0]
	s_waitcnt vmcnt(0)
	v_pk_mul_f32 v[54:55], v[54:55], v[44:45] op_sel_hi:[0,1]
	v_pk_mul_f32 v[52:53], v[52:53], v[46:47] op_sel_hi:[0,1]
	v_pk_mul_f32 v[66:67], v[38:39], v[24:25] op_sel:[1,0]
	v_pk_mul_f32 v[72:73], v[4:5], v[30:31] op_sel:[1,0]
	v_pk_fma_f32 v[56:57], v[8:9], v[22:23], v[58:59] op_sel:[0,0,1] op_sel_hi:[1,1,0] neg_lo:[0,0,1] neg_hi:[0,0,1]
	v_pk_fma_f32 v[8:9], v[8:9], v[22:23], v[58:59] op_sel:[0,0,1] op_sel_hi:[0,1,0]
	v_pk_fma_f32 v[60:61], v[10:11], v[16:17], v[62:63] op_sel:[0,0,1] op_sel_hi:[1,1,0] neg_lo:[0,0,1] neg_hi:[0,0,1]
	v_pk_fma_f32 v[58:59], v[10:11], v[16:17], v[62:63] op_sel:[0,0,1] op_sel_hi:[0,1,0]
	;; [unrolled: 2-line block ×6, first 2 shown]
	v_pk_fma_f32 v[100:101], v[2:3], v[28:29], v[76:77] neg_lo:[0,0,1] neg_hi:[0,0,1]
	v_pk_fma_f32 v[2:3], v[2:3], v[28:29], v[76:77] op_sel_hi:[0,1,1]
	v_pk_mul_f32 v[68:69], v[32:33], v[18:19] op_sel:[1,0]
	v_pk_mul_f32 v[74:75], v[6:7], v[20:21] op_sel:[1,0]
	v_pk_fma_f32 v[36:37], v[38:39], v[24:25], v[66:67] op_sel:[0,0,1] op_sel_hi:[1,1,0] neg_lo:[0,0,1] neg_hi:[0,0,1]
	v_pk_fma_f32 v[80:81], v[38:39], v[24:25], v[66:67] op_sel:[0,0,1] op_sel_hi:[0,1,0]
	v_pk_fma_f32 v[66:67], v[4:5], v[30:31], v[72:73] op_sel:[0,0,1] op_sel_hi:[1,1,0] neg_lo:[0,0,1] neg_hi:[0,0,1]
	v_pk_fma_f32 v[4:5], v[4:5], v[30:31], v[72:73] op_sel:[0,0,1] op_sel_hi:[0,1,0]
	v_mov_b32_e32 v101, v3
	v_mov_b32_e32 v43, v49
	v_pk_fma_f32 v[38:39], v[32:33], v[18:19], v[68:69] op_sel:[0,0,1] op_sel_hi:[1,1,0] neg_lo:[0,0,1] neg_hi:[0,0,1]
	v_pk_fma_f32 v[82:83], v[32:33], v[18:19], v[68:69] op_sel:[0,0,1] op_sel_hi:[0,1,0]
	v_pk_fma_f32 v[68:69], v[6:7], v[20:21], v[74:75] op_sel:[0,0,1] op_sel_hi:[1,1,0] neg_lo:[0,0,1] neg_hi:[0,0,1]
	v_pk_fma_f32 v[6:7], v[6:7], v[20:21], v[74:75] op_sel:[0,0,1] op_sel_hi:[0,1,0]
	v_mov_b32_e32 v61, v59
	v_mov_b32_e32 v67, v5
	;; [unrolled: 1-line block ×3, first 2 shown]
	v_pk_add_f32 v[58:59], v[100:101], v[42:43] neg_lo:[0,1] neg_hi:[0,1]
	v_mov_b32_e32 v69, v7
	v_mov_b32_e32 v63, v41
	v_pk_add_f32 v[54:55], v[100:101], v[42:43]
	v_pk_add_f32 v[86:87], v[66:67], v[64:65] neg_lo:[0,1] neg_hi:[0,1]
	v_pk_mul_f32 v[2:3], v[58:59], s[26:27] op_sel:[1,0] op_sel_hi:[0,0]
	v_pk_add_f32 v[84:85], v[66:67], v[64:65]
	v_pk_add_f32 v[198:199], v[68:69], v[62:63] neg_lo:[0,1] neg_hi:[0,1]
	v_pk_mul_f32 v[4:5], v[86:87], s[18:19] op_sel:[1,0] op_sel_hi:[0,0]
	v_pk_fma_f32 v[110:111], v[54:55], s[0:1], v[2:3] op_sel_hi:[1,0,1]
	v_pk_fma_f32 v[112:113], v[54:55], s[0:1], v[2:3] op_sel_hi:[1,0,1] neg_lo:[0,0,1] neg_hi:[0,0,1]
	v_pk_add_f32 v[96:97], v[68:69], v[62:63]
	v_pk_mul_f32 v[6:7], v[198:199], s[30:31] op_sel:[1,0] op_sel_hi:[0,0]
	v_pk_fma_f32 v[106:107], v[84:85], s[4:5], v[4:5] op_sel_hi:[1,0,1]
	v_pk_fma_f32 v[108:109], v[84:85], s[4:5], v[4:5] op_sel_hi:[1,0,1] neg_lo:[0,0,1] neg_hi:[0,0,1]
	v_mov_b32_e32 v4, v110
	v_mov_b32_e32 v5, v113
	v_pk_mul_f32 v[70:71], v[34:35], v[12:13] op_sel:[1,0]
	v_mov_b32_e32 v57, v9
	v_pk_mul_f32 v[8:9], v[58:59], s[22:23] op_sel:[1,0] op_sel_hi:[0,0]
	v_pk_fma_f32 v[102:103], v[96:97], s[6:7], v[6:7] op_sel_hi:[1,0,1]
	v_pk_fma_f32 v[104:105], v[96:97], s[6:7], v[6:7] op_sel_hi:[1,0,1] neg_lo:[0,0,1] neg_hi:[0,0,1]
	v_mov_b32_e32 v6, v106
	v_mov_b32_e32 v7, v109
	v_pk_add_f32 v[4:5], v[0:1], v[4:5]
	v_pk_fma_f32 v[32:33], v[34:35], v[12:13], v[70:71] op_sel:[0,0,1] op_sel_hi:[1,1,0] neg_lo:[0,0,1] neg_hi:[0,0,1]
	v_pk_fma_f32 v[34:35], v[34:35], v[12:13], v[70:71] op_sel:[0,0,1] op_sel_hi:[0,1,0]
	v_pk_fma_f32 v[126:127], v[54:55], s[24:25], v[8:9] op_sel_hi:[1,0,1]
	v_pk_fma_f32 v[2:3], v[54:55], s[24:25], v[8:9] op_sel_hi:[1,0,1] neg_lo:[0,0,1] neg_hi:[0,0,1]
	v_mov_b32_e32 v8, v102
	v_mov_b32_e32 v9, v105
	v_pk_add_f32 v[4:5], v[6:7], v[4:5]
	v_mov_b32_e32 v33, v35
	v_pk_add_f32 v[34:35], v[8:9], v[4:5]
	v_pk_mul_f32 v[4:5], v[86:87], s[20:21] op_sel:[1,0] op_sel_hi:[0,0]
	v_pk_fma_f32 v[76:77], v[84:85], s[0:1], v[4:5] op_sel_hi:[1,0,1]
	v_pk_fma_f32 v[4:5], v[84:85], s[0:1], v[4:5] op_sel_hi:[1,0,1] neg_lo:[0,0,1] neg_hi:[0,0,1]
	v_mov_b32_e32 v6, v126
	v_mov_b32_e32 v7, v3
	v_pk_add_f32 v[6:7], v[0:1], v[6:7]
	v_mov_b32_e32 v8, v76
	v_mov_b32_e32 v9, v5
	v_pk_add_f32 v[40:41], v[8:9], v[6:7]
	v_pk_mul_f32 v[8:9], v[198:199], s[36:37] op_sel:[1,0] op_sel_hi:[0,0]
	v_mov_b32_e32 v37, v81
	v_pk_fma_f32 v[6:7], v[96:97], s[34:35], v[8:9] op_sel_hi:[1,0,1]
	v_pk_fma_f32 v[8:9], v[96:97], s[34:35], v[8:9] op_sel_hi:[1,0,1] neg_lo:[0,0,1] neg_hi:[0,0,1]
	v_mov_b32_e32 v48, v6
	v_mov_b32_e32 v49, v9
	s_mov_b32 s26, 0xbf6f5d39
	v_pk_add_f32 v[174:175], v[56:57], v[36:37] neg_lo:[0,1] neg_hi:[0,1]
	v_pk_add_f32 v[48:49], v[48:49], v[40:41]
	v_pk_add_f32 v[90:91], v[56:57], v[36:37]
	v_pk_mul_f32 v[40:41], v[174:175], s[26:27] op_sel:[1,0] op_sel_hi:[0,0]
	v_pk_fma_f32 v[114:115], v[90:91], s[28:29], v[40:41] op_sel_hi:[1,0,1]
	v_pk_fma_f32 v[116:117], v[90:91], s[28:29], v[40:41] op_sel_hi:[1,0,1] neg_lo:[0,0,1] neg_hi:[0,0,1]
	v_mov_b32_e32 v40, v114
	v_mov_b32_e32 v41, v117
	v_pk_add_f32 v[50:51], v[40:41], v[34:35]
	v_pk_mul_f32 v[40:41], v[174:175], s[38:39] op_sel:[1,0] op_sel_hi:[0,0]
	v_mov_b32_e32 v11, v79
	v_pk_fma_f32 v[34:35], v[90:91], s[4:5], v[40:41] op_sel_hi:[1,0,1]
	v_pk_fma_f32 v[40:41], v[90:91], s[4:5], v[40:41] op_sel_hi:[1,0,1] neg_lo:[0,0,1] neg_hi:[0,0,1]
	v_mov_b32_e32 v52, v34
	v_mov_b32_e32 v53, v41
	v_pk_add_f32 v[88:89], v[60:61], v[10:11] neg_lo:[0,1] neg_hi:[0,1]
	v_mov_b32_e32 v39, v83
	v_pk_add_f32 v[48:49], v[52:53], v[48:49]
	v_pk_add_f32 v[82:83], v[60:61], v[10:11]
	v_pk_mul_f32 v[52:53], v[88:89], s[36:37] op_sel:[1,0] op_sel_hi:[0,0]
	v_pk_fma_f32 v[118:119], v[82:83], s[34:35], v[52:53] op_sel_hi:[1,0,1]
	v_pk_fma_f32 v[120:121], v[82:83], s[34:35], v[52:53] op_sel_hi:[1,0,1] neg_lo:[0,0,1] neg_hi:[0,0,1]
	v_mov_b32_e32 v52, v118
	v_mov_b32_e32 v53, v121
	v_pk_add_f32 v[50:51], v[52:53], v[50:51]
	v_pk_mul_f32 v[52:53], v[88:89], s[26:27] op_sel:[1,0] op_sel_hi:[0,0]
	v_pk_fma_f32 v[70:71], v[82:83], s[28:29], v[52:53] op_sel_hi:[1,0,1]
	v_pk_fma_f32 v[98:99], v[82:83], s[28:29], v[52:53] op_sel_hi:[1,0,1] neg_lo:[0,0,1] neg_hi:[0,0,1]
	v_mov_b32_e32 v52, v70
	v_mov_b32_e32 v53, v99
	v_pk_add_f32 v[214:215], v[38:39], v[32:33] neg_lo:[0,1] neg_hi:[0,1]
	v_pk_add_f32 v[210:211], v[52:53], v[48:49]
	v_pk_add_f32 v[212:213], v[38:39], v[32:33]
	v_pk_mul_f32 v[48:49], v[214:215], s[22:23] op_sel:[1,0] op_sel_hi:[0,0]
	v_pk_fma_f32 v[122:123], v[212:213], s[24:25], v[48:49] op_sel_hi:[1,0,1]
	v_pk_fma_f32 v[124:125], v[212:213], s[24:25], v[48:49] op_sel_hi:[1,0,1] neg_lo:[0,0,1] neg_hi:[0,0,1]
	v_mov_b32_e32 v48, v122
	v_mov_b32_e32 v49, v125
	v_pk_add_f32 v[48:49], v[48:49], v[50:51]
	v_pk_mul_f32 v[50:51], v[58:59], s[30:31] op_sel:[1,0] op_sel_hi:[0,0]
	v_pk_fma_f32 v[128:129], v[54:55], s[6:7], v[50:51] op_sel_hi:[1,0,1]
	v_pk_fma_f32 v[130:131], v[54:55], s[6:7], v[50:51] op_sel_hi:[1,0,1] neg_lo:[0,0,1] neg_hi:[0,0,1]
	v_pk_mul_f32 v[52:53], v[86:87], s[22:23] op_sel:[1,0] op_sel_hi:[0,0]
	v_mov_b32_e32 v50, v128
	v_mov_b32_e32 v51, v131
	v_pk_fma_f32 v[132:133], v[84:85], s[24:25], v[52:53] op_sel_hi:[1,0,1]
	v_pk_fma_f32 v[134:135], v[84:85], s[24:25], v[52:53] op_sel_hi:[1,0,1] neg_lo:[0,0,1] neg_hi:[0,0,1]
	v_pk_add_f32 v[50:51], v[0:1], v[50:51]
	v_mov_b32_e32 v52, v132
	v_mov_b32_e32 v53, v135
	v_pk_add_f32 v[50:51], v[52:53], v[50:51]
	v_pk_mul_f32 v[52:53], v[198:199], s[40:41] op_sel:[1,0] op_sel_hi:[0,0]
	v_pk_fma_f32 v[136:137], v[96:97], s[28:29], v[52:53] op_sel_hi:[1,0,1]
	v_pk_fma_f32 v[138:139], v[96:97], s[28:29], v[52:53] op_sel_hi:[1,0,1] neg_lo:[0,0,1] neg_hi:[0,0,1]
	v_mov_b32_e32 v52, v136
	v_mov_b32_e32 v53, v139
	v_pk_add_f32 v[50:51], v[52:53], v[50:51]
	v_pk_mul_f32 v[52:53], v[174:175], s[20:21] op_sel:[1,0] op_sel_hi:[0,0]
	v_pk_fma_f32 v[140:141], v[90:91], s[0:1], v[52:53] op_sel_hi:[1,0,1]
	v_pk_fma_f32 v[142:143], v[90:91], s[0:1], v[52:53] op_sel_hi:[1,0,1] neg_lo:[0,0,1] neg_hi:[0,0,1]
	;; [unrolled: 6-line block ×4, first 2 shown]
	v_mov_b32_e32 v52, v148
	v_mov_b32_e32 v53, v151
	v_pk_add_f32 v[52:53], v[52:53], v[50:51]
	s_mov_b32 s40, 0x3f29c268
	v_pk_mul_f32 v[50:51], v[58:59], s[26:27] op_sel:[1,0] op_sel_hi:[0,0]
	v_pk_fma_f32 v[72:73], v[54:55], s[28:29], v[50:51] op_sel_hi:[1,0,1]
	v_pk_fma_f32 v[74:75], v[54:55], s[28:29], v[50:51] op_sel_hi:[1,0,1] neg_lo:[0,0,1] neg_hi:[0,0,1]
	v_pk_mul_f32 v[78:79], v[86:87], s[40:41] op_sel:[1,0] op_sel_hi:[0,0]
	v_mov_b32_e32 v50, v72
	v_mov_b32_e32 v51, v75
	v_pk_fma_f32 v[152:153], v[84:85], s[34:35], v[78:79] op_sel_hi:[1,0,1]
	v_pk_fma_f32 v[154:155], v[84:85], s[34:35], v[78:79] op_sel_hi:[1,0,1] neg_lo:[0,0,1] neg_hi:[0,0,1]
	v_pk_add_f32 v[50:51], v[0:1], v[50:51]
	v_mov_b32_e32 v78, v152
	v_mov_b32_e32 v79, v155
	v_pk_add_f32 v[50:51], v[78:79], v[50:51]
	v_pk_mul_f32 v[78:79], v[198:199], s[20:21] op_sel:[1,0] op_sel_hi:[0,0]
	v_pk_fma_f32 v[156:157], v[96:97], s[0:1], v[78:79] op_sel_hi:[1,0,1]
	v_pk_fma_f32 v[158:159], v[96:97], s[0:1], v[78:79] op_sel_hi:[1,0,1] neg_lo:[0,0,1] neg_hi:[0,0,1]
	v_mov_b32_e32 v78, v156
	v_mov_b32_e32 v79, v159
	v_pk_mul_f32 v[80:81], v[174:175], s[30:31] op_sel:[1,0] op_sel_hi:[0,0]
	v_pk_add_f32 v[50:51], v[78:79], v[50:51]
	v_pk_fma_f32 v[78:79], v[90:91], s[6:7], v[80:81] op_sel_hi:[1,0,1]
	v_pk_fma_f32 v[160:161], v[90:91], s[6:7], v[80:81] op_sel_hi:[1,0,1] neg_lo:[0,0,1] neg_hi:[0,0,1]
	v_mov_b32_e32 v80, v78
	v_mov_b32_e32 v81, v161
	v_pk_add_f32 v[50:51], v[80:81], v[50:51]
	v_pk_mul_f32 v[80:81], v[88:89], s[42:43] op_sel:[1,0] op_sel_hi:[0,0]
	v_pk_fma_f32 v[162:163], v[82:83], s[24:25], v[80:81] op_sel_hi:[1,0,1]
	v_pk_fma_f32 v[164:165], v[82:83], s[24:25], v[80:81] op_sel_hi:[1,0,1] neg_lo:[0,0,1] neg_hi:[0,0,1]
	v_mov_b32_e32 v80, v162
	v_mov_b32_e32 v81, v165
	v_pk_add_f32 v[50:51], v[80:81], v[50:51]
	v_pk_mul_f32 v[80:81], v[214:215], s[38:39] op_sel:[1,0] op_sel_hi:[0,0]
	v_pk_fma_f32 v[166:167], v[212:213], s[4:5], v[80:81] op_sel_hi:[1,0,1]
	v_pk_fma_f32 v[168:169], v[212:213], s[4:5], v[80:81] op_sel_hi:[1,0,1] neg_lo:[0,0,1] neg_hi:[0,0,1]
	v_mov_b32_e32 v80, v166
	v_mov_b32_e32 v81, v169
	s_mov_b32 s30, 0x3f7e222b
	v_pk_add_f32 v[50:51], v[80:81], v[50:51]
	v_pk_mul_f32 v[80:81], v[82:83], s[6:7] op_sel_hi:[1,0]
	v_pk_mul_f32 v[170:171], v[82:83], s[0:1] op_sel_hi:[1,0]
	v_pk_mul_f32 v[82:83], v[88:89], s[30:31] op_sel:[1,0] op_sel_hi:[0,0]
	v_pk_mul_f32 v[94:95], v[88:89], s[20:21] op_sel:[1,0] op_sel_hi:[0,0]
	v_mov_b32_e32 v88, v80
	v_mov_b32_e32 v89, v170
	v_mov_b32_e32 v172, v82
	v_mov_b32_e32 v173, v94
	v_pk_add_f32 v[200:201], v[88:89], v[172:173]
	v_mov_b32_e32 v88, v81
	v_mov_b32_e32 v89, v171
	;; [unrolled: 1-line block ×4, first 2 shown]
	v_pk_add_f32 v[202:203], v[88:89], v[172:173] neg_lo:[0,1] neg_hi:[0,1]
	v_pk_mul_f32 v[88:89], v[90:91], s[34:35] op_sel_hi:[1,0]
	v_pk_mul_f32 v[172:173], v[90:91], s[24:25] op_sel_hi:[1,0]
	v_pk_mul_f32 v[90:91], v[174:175], s[40:41] op_sel:[1,0] op_sel_hi:[0,0]
	v_pk_mul_f32 v[176:177], v[174:175], s[42:43] op_sel:[1,0] op_sel_hi:[0,0]
	v_mov_b32_e32 v174, v88
	v_mov_b32_e32 v175, v172
	;; [unrolled: 1-line block ×4, first 2 shown]
	v_pk_add_f32 v[204:205], v[174:175], v[178:179]
	v_pk_mul_f32 v[174:175], v[54:55], s[4:5] op_sel_hi:[1,0]
	v_pk_mul_f32 v[188:189], v[54:55], s[34:35] op_sel_hi:[1,0]
	v_pk_mul_f32 v[178:179], v[58:59], s[18:19] op_sel:[1,0] op_sel_hi:[0,0]
	v_pk_mul_f32 v[190:191], v[58:59], s[36:37] op_sel:[1,0] op_sel_hi:[0,0]
	v_mov_b32_e32 v54, v174
	v_mov_b32_e32 v55, v188
	;; [unrolled: 1-line block ×4, first 2 shown]
	v_pk_mul_f32 v[180:181], v[84:85], s[28:29] op_sel_hi:[1,0]
	v_pk_mul_f32 v[192:193], v[84:85], s[6:7] op_sel_hi:[1,0]
	v_pk_mul_f32 v[182:183], v[86:87], s[26:27] op_sel:[1,0] op_sel_hi:[0,0]
	v_pk_mul_f32 v[194:195], v[86:87], s[30:31] op_sel:[1,0] op_sel_hi:[0,0]
	v_pk_add_f32 v[54:55], v[54:55], v[58:59]
	v_mov_b32_e32 v58, v180
	v_mov_b32_e32 v59, v192
	;; [unrolled: 1-line block ×4, first 2 shown]
	v_pk_add_f32 v[58:59], v[58:59], v[84:85]
	v_pk_add_f32 v[54:55], v[0:1], v[54:55] op_sel_hi:[0,1]
	v_pk_mul_f32 v[184:185], v[96:97], s[24:25] op_sel_hi:[1,0]
	v_pk_mul_f32 v[196:197], v[96:97], s[4:5] op_sel_hi:[1,0]
	v_pk_mul_f32 v[186:187], v[198:199], s[22:23] op_sel:[1,0] op_sel_hi:[0,0]
	v_pk_mul_f32 v[198:199], v[198:199], s[18:19] op_sel:[1,0] op_sel_hi:[0,0]
	v_pk_add_f32 v[54:55], v[58:59], v[54:55]
	v_mov_b32_e32 v58, v184
	v_mov_b32_e32 v59, v196
	;; [unrolled: 1-line block ×4, first 2 shown]
	v_pk_add_f32 v[58:59], v[58:59], v[84:85]
	v_mov_b32_e32 v84, v91
	v_pk_add_f32 v[54:55], v[58:59], v[54:55]
	v_mov_b32_e32 v58, v89
	v_mov_b32_e32 v59, v173
	;; [unrolled: 1-line block ×3, first 2 shown]
	v_pk_add_f32 v[58:59], v[58:59], v[84:85] neg_lo:[0,1] neg_hi:[0,1]
	v_mov_b32_e32 v84, v175
	v_mov_b32_e32 v85, v189
	;; [unrolled: 1-line block ×4, first 2 shown]
	v_pk_add_f32 v[84:85], v[84:85], v[86:87] neg_lo:[0,1] neg_hi:[0,1]
	v_mov_b32_e32 v86, v181
	v_mov_b32_e32 v87, v193
	v_mov_b32_e32 v96, v183
	v_mov_b32_e32 v97, v195
	v_pk_add_f32 v[86:87], v[86:87], v[96:97] neg_lo:[0,1] neg_hi:[0,1]
	v_pk_add_f32 v[84:85], v[0:1], v[84:85] op_sel:[1,0]
	v_mov_b32_e32 v96, v187
	v_pk_add_f32 v[84:85], v[86:87], v[84:85]
	v_mov_b32_e32 v86, v185
	v_mov_b32_e32 v87, v197
	;; [unrolled: 1-line block ×3, first 2 shown]
	v_pk_add_f32 v[86:87], v[86:87], v[96:97] neg_lo:[0,1] neg_hi:[0,1]
	v_pk_add_f32 v[54:55], v[204:205], v[54:55]
	v_pk_add_f32 v[84:85], v[86:87], v[84:85]
	;; [unrolled: 1-line block ×4, first 2 shown]
	v_pk_mul_f32 v[200:201], v[212:213], s[0:1] op_sel_hi:[1,0]
	v_pk_add_f32 v[58:59], v[202:203], v[58:59]
	v_pk_mul_f32 v[204:205], v[212:213], s[28:29] op_sel_hi:[1,0]
	v_pk_mul_f32 v[202:203], v[214:215], s[20:21] op_sel:[1,0] op_sel_hi:[0,0]
	v_pk_mul_f32 v[206:207], v[214:215], s[26:27] op_sel:[1,0] op_sel_hi:[0,0]
	v_mov_b32_e32 v84, v200
	v_mov_b32_e32 v85, v204
	;; [unrolled: 1-line block ×4, first 2 shown]
	v_pk_add_f32 v[84:85], v[84:85], v[86:87]
	v_mov_b32_e32 v86, v201
	v_mov_b32_e32 v87, v205
	;; [unrolled: 1-line block ×4, first 2 shown]
	v_pk_add_f32 v[86:87], v[86:87], v[96:97] neg_lo:[0,1] neg_hi:[0,1]
	v_pk_add_f32 v[96:97], v[84:85], v[54:55]
	v_pk_mul_f32 v[54:55], v[214:215], s[30:31] op_sel:[1,0] op_sel_hi:[0,0]
	v_pk_add_f32 v[58:59], v[86:87], v[58:59]
	v_pk_fma_f32 v[84:85], v[212:213], s[6:7], v[54:55] op_sel_hi:[1,0,1]
	v_pk_fma_f32 v[86:87], v[212:213], s[6:7], v[54:55] op_sel_hi:[1,0,1] neg_lo:[0,0,1] neg_hi:[0,0,1]
	v_mov_b32_e32 v54, v84
	v_mov_b32_e32 v55, v87
	v_pk_add_f32 v[54:55], v[54:55], v[210:211]
	s_and_saveexec_b64 s[0:1], vcc
	s_cbranch_execz .LBB0_5
; %bb.4:
	v_mov_b32_e32 v3, v127
	v_mov_b32_e32 v5, v77
	v_pk_add_f32 v[76:77], v[188:189], v[190:191] neg_lo:[0,1] neg_hi:[0,1]
	v_pk_add_f32 v[126:127], v[188:189], v[190:191]
	v_pk_add_f32 v[188:189], v[192:193], v[194:195]
	v_mov_b32_e32 v77, v127
	v_pk_add_f32 v[126:127], v[192:193], v[194:195] neg_lo:[0,1] neg_hi:[0,1]
	v_pk_add_f32 v[190:191], v[196:197], v[198:199]
	v_mov_b32_e32 v127, v189
	v_pk_add_f32 v[188:189], v[196:197], v[198:199] neg_lo:[0,1] neg_hi:[0,1]
	v_mov_b32_e32 v113, v111
	v_mov_b32_e32 v189, v191
	v_pk_add_f32 v[190:191], v[172:173], v[176:177] neg_lo:[0,1] neg_hi:[0,1]
	v_pk_add_f32 v[172:173], v[172:173], v[176:177]
	v_pk_add_f32 v[176:177], v[180:181], v[182:183]
	v_mov_b32_e32 v191, v173
	v_pk_add_f32 v[172:173], v[170:171], v[94:95] neg_lo:[0,1] neg_hi:[0,1]
	v_pk_add_f32 v[94:95], v[170:171], v[94:95]
	v_pk_add_f32 v[170:171], v[204:205], v[206:207]
	v_mov_b32_e32 v173, v95
	v_pk_add_f32 v[94:95], v[204:205], v[206:207] neg_lo:[0,1] neg_hi:[0,1]
	v_mov_b32_e32 v109, v107
	v_mov_b32_e32 v95, v171
	v_pk_add_f32 v[170:171], v[174:175], v[178:179] neg_lo:[0,1] neg_hi:[0,1]
	v_pk_add_f32 v[174:175], v[174:175], v[178:179]
	v_pk_add_f32 v[178:179], v[184:185], v[186:187]
	v_mov_b32_e32 v171, v175
	v_pk_add_f32 v[174:175], v[180:181], v[182:183] neg_lo:[0,1] neg_hi:[0,1]
	v_mov_b32_e32 v105, v103
	v_mov_b32_e32 v175, v177
	v_pk_add_f32 v[176:177], v[184:185], v[186:187] neg_lo:[0,1] neg_hi:[0,1]
	v_mov_b32_e32 v117, v115
	v_mov_b32_e32 v177, v179
	v_pk_add_f32 v[178:179], v[88:89], v[90:91] neg_lo:[0,1] neg_hi:[0,1]
	v_pk_add_f32 v[88:89], v[88:89], v[90:91]
	v_accvgpr_read_b32 v6, a22
	v_mov_b32_e32 v179, v89
	v_pk_add_f32 v[88:89], v[80:81], v[82:83] neg_lo:[0,1] neg_hi:[0,1]
	v_pk_add_f32 v[80:81], v[80:81], v[82:83]
	v_pk_add_f32 v[82:83], v[200:201], v[202:203]
	v_mov_b32_e32 v89, v81
	v_pk_add_f32 v[80:81], v[200:201], v[202:203] neg_lo:[0,1] neg_hi:[0,1]
	v_mov_b32_e32 v121, v119
	v_mov_b32_e32 v81, v83
	v_pk_add_f32 v[82:83], v[0:1], v[100:101]
	v_mul_u32_u24_e32 v6, 0x82, v6
	v_pk_add_f32 v[66:67], v[82:83], v[66:67]
	v_accvgpr_read_b32 v9, a23
	v_pk_add_f32 v[66:67], v[66:67], v[68:69]
	v_mov_b32_e32 v125, v123
	v_pk_add_f32 v[56:57], v[66:67], v[56:57]
	v_add_lshl_u32 v6, v6, v9, 3
	v_pk_add_f32 v[56:57], v[56:57], v[60:61]
	v_mov_b32_e32 v131, v129
	v_pk_add_f32 v[38:39], v[56:57], v[38:39]
	v_mov_b32_e32 v135, v133
	;; [unrolled: 2-line block ×3, first 2 shown]
	v_pk_add_f32 v[10:11], v[32:33], v[10:11]
	v_pk_add_f32 v[32:33], v[0:1], v[112:113]
	;; [unrolled: 1-line block ×10, first 2 shown]
	v_mov_b32_e32 v143, v141
	v_pk_add_f32 v[32:33], v[124:125], v[32:33]
	ds_write2_b64 v6, v[10:11], v[32:33] offset1:10
	v_pk_add_f32 v[10:11], v[0:1], v[170:171]
	v_pk_add_f32 v[32:33], v[0:1], v[130:131]
	v_pk_add_f32 v[10:11], v[174:175], v[10:11]
	v_pk_add_f32 v[32:33], v[134:135], v[32:33]
	v_pk_add_f32 v[10:11], v[176:177], v[10:11]
	v_pk_add_f32 v[32:33], v[138:139], v[32:33]
	v_pk_add_f32 v[10:11], v[178:179], v[10:11]
	v_pk_add_f32 v[32:33], v[142:143], v[32:33]
	v_mov_b32_e32 v147, v145
	v_pk_add_f32 v[10:11], v[88:89], v[10:11]
	v_pk_add_f32 v[32:33], v[146:147], v[32:33]
	v_mov_b32_e32 v151, v149
	v_pk_add_f32 v[10:11], v[80:81], v[10:11]
	v_pk_add_f32 v[32:33], v[150:151], v[32:33]
	v_mov_b32_e32 v75, v73
	ds_write2_b64 v6, v[10:11], v[32:33] offset0:20 offset1:30
	v_pk_add_f32 v[10:11], v[0:1], v[74:75]
	v_pk_add_f32 v[32:33], v[0:1], v[76:77]
	v_pk_add_f32 v[0:1], v[0:1], v[2:3]
	v_mov_b32_e32 v9, v7
	v_pk_add_f32 v[0:1], v[4:5], v[0:1]
	v_mov_b32_e32 v155, v153
	v_pk_add_f32 v[0:1], v[8:9], v[0:1]
	;; [unrolled: 2-line block ×4, first 2 shown]
	v_pk_add_f32 v[0:1], v[40:41], v[0:1]
	v_mov_b32_e32 v99, v71
	v_pk_add_f32 v[10:11], v[158:159], v[10:11]
	v_mov_b32_e32 v161, v79
	v_pk_add_f32 v[32:33], v[188:189], v[32:33]
	v_pk_add_f32 v[0:1], v[98:99], v[0:1]
	v_mov_b32_e32 v87, v85
	v_pk_add_f32 v[10:11], v[160:161], v[10:11]
	v_mov_b32_e32 v165, v163
	v_pk_add_f32 v[32:33], v[190:191], v[32:33]
	v_pk_add_f32 v[0:1], v[86:87], v[0:1]
	;; [unrolled: 1-line block ×3, first 2 shown]
	v_mov_b32_e32 v169, v167
	v_pk_add_f32 v[32:33], v[172:173], v[32:33]
	ds_write2_b64 v6, v[0:1], v[54:55] offset0:60 offset1:70
	v_mov_b32_e32 v0, v97
	v_mov_b32_e32 v1, v59
	v_pk_add_f32 v[10:11], v[168:169], v[10:11]
	v_pk_add_f32 v[32:33], v[94:95], v[32:33]
	ds_write2_b64 v6, v[0:1], v[50:51] offset0:80 offset1:90
	v_mov_b32_e32 v0, v96
	v_mov_b32_e32 v1, v58
	ds_write2_b64 v6, v[10:11], v[32:33] offset0:40 offset1:50
	ds_write2_b64 v6, v[52:53], v[0:1] offset0:100 offset1:110
	ds_write_b64 v6, v[48:49] offset:960
.LBB0_5:
	s_or_b64 exec, exec, s[0:1]
	s_waitcnt lgkmcnt(0)
	s_barrier
	ds_read_b64 v[56:57], v92
	ds_read_b64 v[62:63], v92 offset:6240
	ds_read_b64 v[68:69], v92 offset:4160
	;; [unrolled: 1-line block ×6, first 2 shown]
	s_movk_i32 s0, 0x4e
	v_accvgpr_read_b32 v0, a5
	s_movk_i32 s4, 0x4d
	v_cmp_gt_u16_e64 s[0:1], s0, v0
	v_cmp_lt_u16_e64 s[4:5], s4, v0
                                        ; implicit-def: $vgpr74_vgpr75
                                        ; implicit-def: $vgpr78_vgpr79
                                        ; implicit-def: $vgpr72_vgpr73
                                        ; implicit-def: $vgpr76_vgpr77
	s_and_saveexec_b64 s[6:7], s[4:5]
	s_xor_b64 s[6:7], exec, s[6:7]
; %bb.6:
	v_mov_b32_e32 v74, v53
	v_mov_b64_e32 v[78:79], v[52:53]
	v_mov_b64_e32 v[72:73], v[58:59]
	;; [unrolled: 1-line block ×3, first 2 shown]
; %bb.7:
	s_andn2_saveexec_b64 s[6:7], s[6:7]
	s_cbranch_execz .LBB0_9
; %bb.8:
	ds_read_b64 v[0:1], v92 offset:9776
	ds_read_b64 v[54:55], v92 offset:1456
	;; [unrolled: 1-line block ×7, first 2 shown]
	s_waitcnt lgkmcnt(6)
	v_mov_b32_e32 v76, v0
	s_waitcnt lgkmcnt(4)
	v_mov_b32_e32 v77, v58
	v_mov_b32_e32 v72, v1
	;; [unrolled: 1-line block ×3, first 2 shown]
	s_waitcnt lgkmcnt(2)
	v_mov_b32_e32 v78, v2
	s_waitcnt lgkmcnt(0)
	v_mov_b32_e32 v79, v4
	v_mov_b32_e32 v74, v3
	;; [unrolled: 1-line block ×5, first 2 shown]
.LBB0_9:
	s_or_b64 exec, exec, s[6:7]
	v_accvgpr_read_b32 v90, a5
	s_movk_i32 s6, 0x82
	v_add_u32_e32 v0, 0xffffff7e, v90
	v_cmp_gt_u16_e64 s[6:7], s6, v90
	v_add_u32_e32 v2, 0xb6, v90
	v_mov_b32_e32 v67, 0
	v_cndmask_b32_e64 v88, v0, v90, s[6:7]
	s_movk_i32 s6, 0xfc1
	v_mul_u32_u24_sdwa v3, v2, s6 dst_sel:DWORD dst_unused:UNUSED_PAD src0_sel:WORD_0 src1_sel:DWORD
	v_lshrrev_b32_e32 v3, 19, v3
	v_mul_lo_u16_e32 v3, 0x82, v3
	v_sub_u16_e32 v93, v2, v3
	v_mul_hi_i32_i24_e32 v1, 48, v88
	v_mul_i32_i24_e32 v0, 48, v88
	v_mul_lo_u16_e32 v66, 48, v93
	v_lshl_add_u64 v[0:1], s[14:15], 0, v[0:1]
	v_lshl_add_u64 v[80:81], s[14:15], 0, v[66:67]
	global_load_dwordx4 v[36:39], v[0:1], off offset:976
	global_load_dwordx4 v[32:35], v[0:1], off offset:960
	;; [unrolled: 1-line block ×5, first 2 shown]
	s_nop 0
	global_load_dwordx4 v[0:3], v[80:81], off offset:976
	v_mov_b32_e32 v82, v78
	v_mov_b32_e32 v83, v50
	;; [unrolled: 1-line block ×4, first 2 shown]
	s_mov_b32 s28, 0xbf08b237
	s_mov_b32 s18, 0x3d64c772
	;; [unrolled: 1-line block ×7, first 2 shown]
	s_movk_i32 s6, 0x81
	v_cmp_lt_u16_e64 s[6:7], s6, v90
	s_mov_b32 s20, 0x3f5ff5aa
	s_waitcnt lgkmcnt(0)
	s_barrier
	s_waitcnt vmcnt(5)
	v_mul_f32_e32 v89, v71, v38
	s_waitcnt vmcnt(4)
	v_mul_f32_e32 v52, v69, v35
	s_waitcnt vmcnt(2)
	v_mul_f32_e32 v95, v97, v5
	v_pk_mul_f32 v[96:97], v[50:51], v[6:7]
	s_waitcnt vmcnt(0)
	v_mov_b32_e32 v104, v1
	v_mov_b32_e32 v105, v7
	;; [unrolled: 1-line block ×4, first 2 shown]
	v_mul_f32_e32 v58, v65, v41
	v_fma_f32 v84, v68, v34, -v52
	v_pk_mul_f32 v[98:99], v[48:49], v[8:9]
	v_mul_f32_e32 v53, v53, v11
	v_mov_b32_e32 v102, v0
	v_mov_b32_e32 v103, v6
	;; [unrolled: 1-line block ×7, first 2 shown]
	v_pk_mul_f32 v[82:83], v[82:83], v[104:105]
	v_pk_mul_f32 v[96:97], v[72:73], v[108:109]
	v_fma_f32 v86, v64, v40, -v58
	v_mov_b32_e32 v112, v3
	v_mov_b32_e32 v113, v9
	;; [unrolled: 1-line block ×5, first 2 shown]
	v_fmac_f32_e32 v53, v75, v10
	v_pk_mul_f32 v[74:75], v[74:75], v[116:117]
	v_pk_fma_f32 v[80:81], v[80:81], v[102:103], v[82:83]
	v_pk_fma_f32 v[82:83], v[76:77], v[106:107], v[96:97] neg_lo:[0,0,1] neg_hi:[0,0,1]
	v_mov_b32_e32 v77, v48
	v_mov_b32_e32 v110, v2
	;; [unrolled: 1-line block ×3, first 2 shown]
	v_fmac_f32_e32 v95, v59, v4
	v_mov_b32_e32 v73, v49
	v_pk_fma_f32 v[50:51], v[50:51], v[6:7], v[52:53] neg_lo:[0,0,1] neg_hi:[0,0,1]
	v_pk_fma_f32 v[58:59], v[48:49], v[8:9], v[58:59] neg_lo:[0,0,1] neg_hi:[0,0,1]
	;; [unrolled: 1-line block ×3, first 2 shown]
	v_pk_mul_f32 v[74:75], v[76:77], v[112:113]
	v_mov_b32_e32 v97, v58
	v_mov_b32_e32 v51, v58
	v_pk_fma_f32 v[58:59], v[72:73], v[110:111], v[74:75]
	v_mov_b32_e32 v78, v48
	v_mov_b32_e32 v79, v50
	;; [unrolled: 1-line block ×7, first 2 shown]
	v_pk_add_f32 v[72:73], v[78:79], v[96:97]
	v_pk_add_f32 v[78:79], v[80:81], v[58:59]
	v_mov_b32_e32 v50, v59
	v_pk_add_f32 v[80:81], v[94:95], v[52:53] neg_lo:[0,1] neg_hi:[0,1]
	v_mov_b32_e32 v94, v83
	v_mov_b32_e32 v52, v49
	v_pk_add_f32 v[76:77], v[82:83], v[48:49] neg_lo:[0,1] neg_hi:[0,1]
	v_pk_add_f32 v[48:49], v[98:99], v[50:51] neg_lo:[0,1] neg_hi:[0,1]
	v_pk_add_f32 v[82:83], v[94:95], v[52:53]
	v_mov_b32_e32 v75, v76
	v_mov_b32_e32 v50, v79
	;; [unrolled: 1-line block ×3, first 2 shown]
	v_sub_f32_e32 v58, v49, v77
	v_mov_b32_e32 v51, v83
	v_pk_add_f32 v[52:53], v[76:77], v[74:75] neg_lo:[0,1] neg_hi:[0,1]
	v_pk_add_f32 v[50:51], v[78:79], v[50:51] neg_lo:[0,1] neg_hi:[0,1]
	v_mul_f32_e32 v58, 0x3f5ff5aa, v58
	v_mov_b32_e32 v96, v72
	v_mov_b32_e32 v97, v78
	v_mov_b32_e32 v78, v73
	v_pk_mul_f32 v[94:95], v[52:53], s[28:29]
	v_pk_add_f32 v[98:99], v[82:83], v[96:97] neg_lo:[0,1] neg_hi:[0,1]
	v_pk_fma_f32 v[58:59], v[52:53], s[28:29], v[58:59] op_sel_hi:[1,1,0] neg_lo:[1,0,0] neg_hi:[1,0,1]
	v_pk_add_f32 v[52:53], v[78:79], v[82:83]
	v_pk_mul_f32 v[74:75], v[50:51], s[18:19]
	v_pk_mul_f32 v[102:103], v[98:99], s[24:25] op_sel_hi:[1,0]
	v_pk_add_f32 v[78:79], v[96:97], v[52:53]
	v_xor_b32_e32 v105, 0x80000000, v103
	v_mov_b32_e32 v104, v75
	v_pk_add_f32 v[52:53], v[54:55], v[78:79]
	v_pk_fma_f32 v[50:51], v[50:51], s[18:19], v[104:105] neg_lo:[1,0,0] neg_hi:[1,0,0]
	v_pk_fma_f32 v[78:79], v[78:79], s[26:27], v[52:53] op_sel_hi:[1,0,1] neg_lo:[1,0,0] neg_hi:[1,0,0]
	v_mov_b32_e32 v96, v73
	v_pk_add_f32 v[54:55], v[50:51], v[78:79] op_sel:[0,1]
	v_mov_b32_e32 v50, v80
	v_mov_b32_e32 v51, v76
	;; [unrolled: 1-line block ×3, first 2 shown]
	v_pk_add_f32 v[50:51], v[50:51], v[48:49]
	v_pk_add_f32 v[72:73], v[72:73], v[96:97] neg_lo:[0,1] neg_hi:[0,1]
	v_mov_b32_e32 v49, v80
	v_pk_add_f32 v[82:83], v[80:81], v[48:49] neg_lo:[0,1] neg_hi:[0,1]
	v_sub_f32_e32 v66, v48, v81
	v_pk_mul_f32 v[48:49], v[72:73], s[18:19]
	v_mov_b32_e32 v76, v81
	v_mov_b32_e32 v96, v48
	;; [unrolled: 1-line block ×3, first 2 shown]
	v_pk_add_f32 v[50:51], v[50:51], v[76:77]
	v_pk_mul_f32 v[80:81], v[82:83], s[28:29]
	v_mul_f32_e32 v66, 0x3f5ff5aa, v66
	v_pk_fma_f32 v[74:75], v[98:99], s[24:25], v[96:97] op_sel_hi:[1,0,1]
	v_xor_b32_e32 v97, 0x80000000, v102
	v_mov_b32_e32 v96, v49
	v_pk_mul_f32 v[76:77], v[50:51], s[22:23] op_sel_hi:[1,0]
	v_pk_fma_f32 v[48:49], v[72:73], s[18:19], v[96:97] neg_lo:[1,0,0] neg_hi:[1,0,0]
	v_mov_b32_e32 v72, v80
	v_mov_b32_e32 v73, v94
	;; [unrolled: 1-line block ×3, first 2 shown]
	v_pk_fma_f32 v[82:83], v[82:83], s[28:29], v[66:67] op_sel_hi:[1,1,0] neg_lo:[1,0,0] neg_hi:[1,0,1]
	v_pk_add_f32 v[58:59], v[76:77], v[58:59] op_sel:[1,0]
	v_pk_add_f32 v[80:81], v[72:73], v[94:95]
	v_pk_add_f32 v[94:95], v[74:75], v[78:79]
	v_pk_add_f32 v[72:73], v[48:49], v[78:79] op_sel_hi:[1,0]
	v_pk_add_f32 v[74:75], v[76:77], v[82:83] op_sel_hi:[0,1]
	v_pk_fma_f32 v[78:79], v[50:51], s[22:23], v[80:81] op_sel_hi:[1,0,1]
	v_mov_b32_e32 v48, v74
	v_mov_b32_e32 v49, v54
	;; [unrolled: 1-line block ×4, first 2 shown]
	v_mul_f32_e32 v91, v70, v39
	v_pk_add_f32 v[50:51], v[48:49], v[76:77]
	v_pk_add_f32 v[112:113], v[48:49], v[76:77] neg_lo:[0,1] neg_hi:[0,1]
	v_pk_add_f32 v[76:77], v[94:95], v[78:79] neg_lo:[0,1] neg_hi:[0,1]
	v_pk_add_f32 v[78:79], v[94:95], v[78:79]
	v_mov_b32_e32 v94, v69
	v_mov_b32_e32 v95, v70
	;; [unrolled: 1-line block ×7, first 2 shown]
	v_pk_mul_f32 v[68:69], v[68:69], v[70:71]
	v_mul_f32_e32 v85, v63, v36
	v_mul_f32_e32 v87, v62, v37
	v_pk_fma_f32 v[70:71], v[94:95], v[34:35], v[68:69]
	v_pk_fma_f32 v[68:69], v[94:95], v[98:99], v[68:69] neg_lo:[0,0,1] neg_hi:[0,0,1]
	v_mov_b32_e32 v94, v65
	v_mov_b32_e32 v95, v62
	;; [unrolled: 1-line block ×7, first 2 shown]
	v_pk_mul_f32 v[62:63], v[64:65], v[62:63]
	v_mov_b32_e32 v51, 0x38e
	v_pk_fma_f32 v[64:65], v[94:95], v[40:41], v[62:63]
	v_pk_fma_f32 v[62:63], v[94:95], v[98:99], v[62:63] neg_lo:[0,0,1] neg_hi:[0,0,1]
	v_pk_mul_f32 v[80:81], v[100:101], v[32:33] op_sel_hi:[1,0]
	v_pk_mul_f32 v[94:95], v[60:61], v[42:43] op_sel_hi:[1,0]
	v_mov_b32_e32 v62, v43
	v_cndmask_b32_e64 v51, 0, v51, s[6:7]
	v_pk_fma_f32 v[82:83], v[100:101], v[32:33], v[80:81] op_sel:[0,1,1] op_sel_hi:[1,1,0]
	v_pk_fma_f32 v[80:81], v[100:101], v[32:33], v[80:81] op_sel:[0,1,1] op_sel_hi:[1,1,0] neg_lo:[1,0,0] neg_hi:[1,0,0]
	v_pk_fma_f32 v[98:99], v[60:61], v[62:63], v[94:95] op_sel:[0,0,1] op_sel_hi:[1,0,0]
	v_pk_fma_f32 v[60:61], v[60:61], v[62:63], v[94:95] op_sel:[0,0,1] op_sel_hi:[1,0,0] neg_lo:[1,0,0] neg_hi:[1,0,0]
	v_accvgpr_write_b32 a24, v78
	v_add_lshl_u32 v66, v88, v51, 3
	v_mov_b32_e32 v88, v81
	v_mov_b32_e32 v90, v61
	v_accvgpr_write_b32 a25, v79
	v_mov_b32_e32 v97, v79
	v_pk_add_f32 v[78:79], v[84:85], v[86:87]
	v_mov_b32_e32 v83, v81
	v_mov_b32_e32 v71, v69
	;; [unrolled: 1-line block ×4, first 2 shown]
	v_pk_add_f32 v[60:61], v[88:89], v[90:91]
	v_pk_add_f32 v[94:95], v[82:83], v[98:99]
	v_pk_add_f32 v[82:83], v[82:83], v[98:99] neg_lo:[0,1] neg_hi:[0,1]
	v_pk_add_f32 v[98:99], v[70:71], v[64:65]
	v_pk_add_f32 v[64:65], v[70:71], v[64:65] neg_lo:[0,1] neg_hi:[0,1]
	v_mov_b32_e32 v70, v61
	v_mov_b32_e32 v71, v84
	;; [unrolled: 1-line block ×4, first 2 shown]
	v_pk_add_f32 v[70:71], v[70:71], v[80:81] neg_lo:[0,1] neg_hi:[0,1]
	v_mov_b32_e32 v62, v63
	v_mov_b32_e32 v63, v98
	;; [unrolled: 1-line block ×6, first 2 shown]
	v_pk_add_f32 v[90:91], v[78:79], v[60:61]
	v_pk_add_f32 v[62:63], v[62:63], v[68:69]
	v_pk_add_f32 v[86:87], v[86:87], v[64:65] neg_lo:[0,1] neg_hi:[0,1]
	v_mov_b32_e32 v68, v62
	v_mov_b32_e32 v79, v91
	;; [unrolled: 1-line block ×4, first 2 shown]
	s_mov_b32 s6, s29
	s_mov_b32 s7, s28
	v_pk_mul_f32 v[86:87], v[86:87], s[28:29]
	v_pk_add_f32 v[68:69], v[68:69], v[78:79] neg_lo:[0,1] neg_hi:[0,1]
	v_mov_b32_e32 v61, v91
	v_mov_b32_e32 v100, v62
	;; [unrolled: 1-line block ×3, first 2 shown]
	v_pk_add_f32 v[62:63], v[90:91], v[62:63]
	s_mov_b32 s28, s18
	s_mov_b32 s29, s24
	v_pk_add_f32 v[80:81], v[80:81], v[70:71] neg_lo:[0,1] neg_hi:[0,1]
	v_pk_add_f32 v[88:89], v[64:65], v[70:71]
	v_pk_add_f32 v[100:101], v[60:61], v[100:101] neg_lo:[0,1] neg_hi:[0,1]
	v_pk_add_f32 v[56:57], v[56:57], v[62:63]
	v_pk_mul_f32 v[68:69], v[68:69], s[28:29]
	s_mov_b32 s25, s18
	v_pk_mul_f32 v[84:85], v[80:81], s[6:7]
	v_pk_add_f32 v[88:89], v[88:89], v[82:83]
	v_pk_mul_f32 v[90:91], v[100:101], s[24:25]
	v_pk_fma_f32 v[62:63], v[62:63], s[26:27], v[56:57] op_sel_hi:[1,0,1] neg_lo:[1,0,0] neg_hi:[1,0,0]
	v_pk_fma_f32 v[100:101], v[100:101], s[24:25], v[68:69]
	v_pk_fma_f32 v[80:81], v[80:81], s[6:7], v[86:87]
	v_pk_add_f32 v[100:101], v[100:101], v[62:63]
	v_pk_fma_f32 v[80:81], v[88:89], s[22:23], v[80:81] op_sel_hi:[1,0,1]
	v_mov_b32_e32 v65, v71
	v_pk_add_f32 v[102:103], v[100:101], v[80:81]
	v_pk_add_f32 v[80:81], v[100:101], v[80:81] neg_lo:[0,1] neg_hi:[0,1]
	v_mov_b32_e32 v100, v102
	v_mov_b32_e32 v101, v81
	;; [unrolled: 1-line block ×4, first 2 shown]
	ds_write2_b64 v66, v[56:57], v[100:101] offset1:130
	v_pk_add_f32 v[56:57], v[64:65], v[82:83] neg_lo:[0,1] neg_hi:[0,1]
	v_pk_add_f32 v[60:61], v[78:79], v[60:61] neg_lo:[0,1] neg_hi:[0,1]
	s_mov_b32 s6, s19
	v_mov_b32_e32 v64, v90
	v_mov_b32_e32 v65, v69
	;; [unrolled: 1-line block ×6, first 2 shown]
	v_pk_fma_f32 v[64:65], v[60:61], s[6:7], v[64:65] op_sel_hi:[1,0,1] neg_lo:[1,0,1] neg_hi:[1,0,1]
	v_pk_fma_f32 v[70:71], v[56:57], s[20:21], v[70:71] op_sel_hi:[1,0,1] neg_lo:[1,0,1] neg_hi:[1,0,1]
	;; [unrolled: 1-line block ×4, first 2 shown]
	v_pk_add_f32 v[64:65], v[64:65], v[62:63]
	v_pk_fma_f32 v[70:71], v[88:89], s[22:23], v[70:71] op_sel_hi:[1,0,1]
	v_pk_add_f32 v[60:61], v[60:61], v[62:63]
	v_pk_fma_f32 v[56:57], v[88:89], s[22:23], v[56:57] op_sel_hi:[1,0,1]
	v_pk_add_f32 v[78:79], v[64:65], v[70:71]
	v_pk_add_f32 v[64:65], v[64:65], v[70:71] neg_lo:[0,1] neg_hi:[0,1]
	v_pk_add_f32 v[62:63], v[60:61], v[56:57] neg_lo:[0,1] neg_hi:[0,1]
	v_pk_add_f32 v[56:57], v[60:61], v[56:57]
	v_mov_b32_e32 v70, v78
	v_mov_b32_e32 v71, v65
	;; [unrolled: 1-line block ×4, first 2 shown]
	v_add_u32_e32 v51, 0x800, v66
	ds_write2_b64 v51, v[70:71], v[60:61] offset0:4 offset1:134
	v_mov_b32_e32 v57, v63
	v_mov_b32_e32 v65, v79
	v_add_u32_e32 v51, 0x1000, v66
	ds_write2_b64 v51, v[56:57], v[64:65] offset0:8 offset1:138
	v_lshlrev_b32_e32 v51, 3, v93
	v_pk_add_f32 v[48:49], v[72:73], v[74:75] neg_lo:[0,1] neg_hi:[0,1]
	v_pk_add_f32 v[110:111], v[58:59], v[54:55]
	v_mov_b32_e32 v96, v76
	s_movk_i32 s18, 0x1000
	v_mov_b32_e32 v81, v103
	v_accvgpr_write_b32 a27, v66
	v_accvgpr_write_b32 a26, v51
	ds_write_b64 v66, v[80:81] offset:6240
	s_and_saveexec_b64 s[6:7], s[0:1]
	s_cbranch_execz .LBB0_11
; %bb.10:
	v_accvgpr_read_b32 v57, a25
	v_accvgpr_read_b32 v56, a24
	;; [unrolled: 1-line block ×3, first 2 shown]
	v_mov_b32_e32 v76, v56
	v_add_u32_e32 v51, 0x1c00, v57
	ds_write2_b64 v51, v[52:53], v[76:77] offset0:14 offset1:144
	v_mov_b32_e32 v52, v75
	v_mov_b32_e32 v56, v73
	v_pk_add_f32 v[52:53], v[52:53], v[56:57]
	v_pk_add_f32 v[54:55], v[54:55], v[58:59] neg_lo:[0,1] neg_hi:[0,1]
	v_add_u32_e32 v51, 0x2400, v57
	v_mov_b32_e32 v53, v55
	v_mov_b32_e32 v54, v48
	;; [unrolled: 1-line block ×3, first 2 shown]
	ds_write2_b64 v51, v[52:53], v[54:55] offset0:18 offset1:148
	v_mov_b32_e32 v51, v113
	v_mov_b32_e32 v52, v49
	;; [unrolled: 1-line block ×3, first 2 shown]
	v_add_u32_e32 v54, 0x2c00, v57
	ds_write2_b64 v54, v[50:51], v[52:53] offset0:22 offset1:152
	ds_write_b64 v57, v[96:97] offset:13520
.LBB0_11:
	s_or_b64 exec, exec, s[6:7]
	v_mov_b32_e32 v93, v67
	v_lshl_add_u64 v[52:53], s[14:15], 0, v[92:93]
	v_add_co_u32_e64 v54, s[6:7], s18, v52
	s_waitcnt lgkmcnt(0)
	s_nop 0
	v_addc_co_u32_e64 v55, s[6:7], 0, v53, s[6:7]
	s_movk_i32 s6, 0x2000
	s_nop 0
	v_add_co_u32_e64 v56, s[6:7], s6, v52
	s_barrier
	s_nop 0
	v_addc_co_u32_e64 v57, s[6:7], 0, v53, s[6:7]
	global_load_dwordx2 v[108:109], v[54:55], off offset:3104
	global_load_dwordx2 v[106:107], v[56:57], off offset:464
	;; [unrolled: 1-line block ×3, first 2 shown]
	s_movk_i32 s18, 0x3000
	v_add_co_u32_e64 v52, s[6:7], s18, v52
	v_add_u32_e32 v51, 0x1600, v92
	s_nop 0
	v_addc_co_u32_e64 v53, s[6:7], 0, v53, s[6:7]
	global_load_dwordx2 v[102:103], v[56:57], off offset:3376
	global_load_dwordx2 v[100:101], v[52:53], off offset:736
	ds_read2_b64 v[52:55], v92 offset1:182
	v_add_u32_e32 v86, 0x2000, v92
	v_add_u32_e32 v87, 0xa00, v92
	ds_read2_b64 v[56:59], v51 offset0:24 offset1:206
	ds_read2_b64 v[60:63], v86 offset0:68 offset1:250
	;; [unrolled: 1-line block ×3, first 2 shown]
	v_add_u32_e32 v88, 0x2c00, v92
	v_add_u32_e32 v80, 0x1c00, v92
	;; [unrolled: 1-line block ×3, first 2 shown]
	v_lshl_add_u64 v[68:69], s[12:13], 0, v[92:93]
	v_add_u32_e32 v82, 0x2600, v92
	s_mov_b64 s[14:15], 0x38e0
	v_add_co_u32_e64 v70, s[6:7], s18, v68
	v_add_u32_e32 v83, 0x1000, v92
	s_nop 0
	v_addc_co_u32_e64 v71, s[6:7], 0, v69, s[6:7]
	s_movk_i32 s6, 0x4000
	s_movk_i32 s12, 0x5000
	;; [unrolled: 1-line block ×3, first 2 shown]
	s_mov_b32 s18, 0x3f4f1bbd
	s_waitcnt vmcnt(4) lgkmcnt(2)
	v_pk_mul_f32 v[72:73], v[58:59], v[108:109] op_sel:[0,1]
	s_waitcnt vmcnt(3) lgkmcnt(1)
	v_pk_mul_f32 v[74:75], v[60:61], v[106:107] op_sel:[0,1]
	s_waitcnt vmcnt(2)
	v_pk_mul_f32 v[76:77], v[62:63], v[104:105] op_sel:[0,1]
	v_pk_fma_f32 v[78:79], v[58:59], v[108:109], v[72:73] op_sel:[0,0,1] op_sel_hi:[1,1,0] neg_lo:[0,0,1] neg_hi:[0,0,1]
	v_pk_fma_f32 v[58:59], v[58:59], v[108:109], v[72:73] op_sel:[0,0,1] op_sel_hi:[1,0,0]
	v_pk_fma_f32 v[72:73], v[60:61], v[106:107], v[74:75] op_sel:[0,0,1] op_sel_hi:[1,1,0] neg_lo:[0,0,1] neg_hi:[0,0,1]
	v_pk_fma_f32 v[60:61], v[60:61], v[106:107], v[74:75] op_sel:[0,0,1] op_sel_hi:[1,0,0]
	;; [unrolled: 2-line block ×3, first 2 shown]
	v_mov_b32_e32 v79, v59
	v_mov_b32_e32 v75, v63
	v_pk_add_f32 v[62:63], v[52:53], v[78:79] neg_lo:[0,1] neg_hi:[0,1]
	v_mov_b32_e32 v73, v61
	v_pk_fma_f32 v[52:53], v[52:53], 2.0, v[62:63] op_sel_hi:[1,0,1] neg_lo:[0,0,1] neg_hi:[0,0,1]
	ds_write_b64 v92, v[52:53]
	ds_read2_b64 v[58:61], v88 offset0:48 offset1:230
	v_pk_add_f32 v[72:73], v[54:55], v[72:73] neg_lo:[0,1] neg_hi:[0,1]
	s_waitcnt lgkmcnt(2)
	v_pk_add_f32 v[74:75], v[64:65], v[74:75] neg_lo:[0,1] neg_hi:[0,1]
	v_pk_fma_f32 v[52:53], v[54:55], 2.0, v[72:73] op_sel_hi:[1,0,1] neg_lo:[0,0,1] neg_hi:[0,0,1]
	v_pk_fma_f32 v[54:55], v[64:65], 2.0, v[74:75] op_sel_hi:[1,0,1] neg_lo:[0,0,1] neg_hi:[0,0,1]
	ds_write2_b64 v80, v[62:63], v[72:73] offset0:14 offset1:196
	ds_write2_b64 v81, v[52:53], v[54:55] offset0:54 offset1:236
	s_waitcnt vmcnt(1) lgkmcnt(2)
	v_pk_mul_f32 v[52:53], v[58:59], v[102:103] op_sel:[0,1]
	s_waitcnt vmcnt(0)
	v_pk_mul_f32 v[54:55], v[60:61], v[100:101] op_sel:[0,1]
	v_pk_fma_f32 v[62:63], v[58:59], v[102:103], v[52:53] op_sel:[0,0,1] op_sel_hi:[1,1,0] neg_lo:[0,0,1] neg_hi:[0,0,1]
	v_pk_fma_f32 v[52:53], v[58:59], v[102:103], v[52:53] op_sel:[0,0,1] op_sel_hi:[1,0,0]
	v_pk_fma_f32 v[58:59], v[60:61], v[100:101], v[54:55] op_sel:[0,0,1] op_sel_hi:[1,1,0] neg_lo:[0,0,1] neg_hi:[0,0,1]
	v_pk_fma_f32 v[54:55], v[60:61], v[100:101], v[54:55] op_sel:[0,0,1] op_sel_hi:[1,0,0]
	v_mov_b32_e32 v63, v53
	v_mov_b32_e32 v59, v55
	v_pk_add_f32 v[52:53], v[66:67], v[62:63] neg_lo:[0,1] neg_hi:[0,1]
	v_pk_add_f32 v[54:55], v[56:57], v[58:59] neg_lo:[0,1] neg_hi:[0,1]
	v_pk_fma_f32 v[58:59], v[66:67], 2.0, v[52:53] op_sel_hi:[1,0,1] neg_lo:[0,0,1] neg_hi:[0,0,1]
	v_pk_fma_f32 v[56:57], v[56:57], 2.0, v[54:55] op_sel_hi:[1,0,1] neg_lo:[0,0,1] neg_hi:[0,0,1]
	ds_write2_b64 v82, v[74:75], v[52:53] offset0:58 offset1:240
	ds_write_b64 v92, v[54:55] offset:13104
	ds_write2_b64 v83, v[58:59], v[56:57] offset0:34 offset1:216
	v_lshl_add_u64 v[52:53], v[68:69], 0, s[14:15]
	s_waitcnt lgkmcnt(0)
	s_barrier
	global_load_dwordx2 v[56:57], v[70:71], off offset:2272
	global_load_dwordx2 v[58:59], v[52:53], off offset:1456
	v_add_co_u32_e64 v54, s[6:7], s6, v68
	s_mov_b32 s14, 0x3f737871
	s_nop 0
	v_addc_co_u32_e64 v55, s[6:7], 0, v69, s[6:7]
	global_load_dwordx2 v[70:71], v[54:55], off offset:2544
	global_load_dwordx2 v[72:73], v[52:53], off offset:2912
	v_add_co_u32_e64 v52, s[6:7], s12, v68
	s_mov_b32 s12, 0x3e9e377a
	s_nop 0
	v_addc_co_u32_e64 v53, s[6:7], 0, v69, s[6:7]
	global_load_dwordx2 v[74:75], v[54:55], off offset:4000
	global_load_dwordx2 v[76:77], v[52:53], off offset:1360
	;; [unrolled: 1-line block ×3, first 2 shown]
	v_add_co_u32_e64 v52, s[6:7], s13, v68
	s_nop 1
	v_addc_co_u32_e64 v53, s[6:7], 0, v69, s[6:7]
	global_load_dwordx2 v[68:69], v[52:53], off offset:176
	global_load_dwordx2 v[80:81], v[52:53], off offset:1632
	;; [unrolled: 1-line block ×3, first 2 shown]
	ds_read2_b64 v[52:55], v92 offset1:182
	s_mov_b32 s6, 0x3f167918
	s_waitcnt vmcnt(9) lgkmcnt(0)
	v_mul_f32_e32 v60, v53, v57
	v_mul_f32_e32 v61, v52, v57
	s_waitcnt vmcnt(8)
	v_mul_f32_e32 v62, v55, v59
	v_mul_f32_e32 v57, v54, v59
	v_fma_f32 v60, v52, v56, -v60
	v_fmac_f32_e32 v61, v53, v56
	v_fma_f32 v56, v54, v58, -v62
	v_fmac_f32_e32 v57, v55, v58
	ds_write2_b64 v92, v[60:61], v[56:57] offset1:182
	ds_read2_b64 v[52:55], v87 offset0:44 offset1:226
	ds_read2_b64 v[56:59], v51 offset0:24 offset1:206
	;; [unrolled: 1-line block ×4, first 2 shown]
	s_waitcnt vmcnt(5) lgkmcnt(2)
	v_mul_f32_e32 v90, v57, v75
	v_mul_f32_e32 v84, v53, v73
	;; [unrolled: 1-line block ×6, first 2 shown]
	s_waitcnt vmcnt(4)
	v_mul_f32_e32 v91, v59, v77
	v_mul_f32_e32 v75, v58, v77
	s_waitcnt vmcnt(3) lgkmcnt(1)
	v_mul_f32_e32 v93, v61, v79
	v_mul_f32_e32 v77, v60, v79
	s_waitcnt vmcnt(2)
	v_mul_f32_e32 v94, v63, v69
	v_mul_f32_e32 v79, v62, v69
	s_waitcnt vmcnt(1) lgkmcnt(0)
	v_mul_f32_e32 v95, v65, v81
	v_mul_f32_e32 v69, v64, v81
	s_waitcnt vmcnt(0)
	v_mul_f32_e32 v97, v67, v83
	v_mul_f32_e32 v81, v66, v83
	v_fma_f32 v84, v52, v72, -v84
	v_fmac_f32_e32 v85, v53, v72
	v_fma_f32 v72, v54, v70, -v89
	v_fmac_f32_e32 v73, v55, v70
	v_fma_f32 v70, v56, v74, -v90
	v_fmac_f32_e32 v71, v57, v74
	v_fma_f32 v74, v58, v76, -v91
	v_fmac_f32_e32 v75, v59, v76
	v_fma_f32 v76, v60, v78, -v93
	v_fmac_f32_e32 v77, v61, v78
	v_fma_f32 v78, v62, v68, -v94
	v_fmac_f32_e32 v79, v63, v68
	v_fma_f32 v68, v64, v80, -v95
	v_fmac_f32_e32 v69, v65, v80
	v_fma_f32 v80, v66, v82, -v97
	v_fmac_f32_e32 v81, v67, v82
	ds_write2_b64 v87, v[84:85], v[72:73] offset0:44 offset1:226
	ds_write2_b64 v51, v[70:71], v[74:75] offset0:24 offset1:206
	;; [unrolled: 1-line block ×4, first 2 shown]
	s_waitcnt lgkmcnt(0)
	s_barrier
	ds_read2_b64 v[56:59], v92 offset1:182
	ds_read2_b64 v[60:63], v51 offset0:24 offset1:206
	ds_read2_b64 v[64:67], v86 offset0:68 offset1:250
	;; [unrolled: 1-line block ×4, first 2 shown]
	s_waitcnt lgkmcnt(0)
	v_mov_b32_e32 v124, v62
	v_pk_add_f32 v[54:55], v[60:61], v[64:65]
	v_pk_add_f32 v[52:53], v[56:57], v[68:69]
	v_pk_add_f32 v[80:81], v[68:69], v[72:73] neg_lo:[0,1] neg_hi:[0,1]
	v_pk_add_f32 v[76:77], v[60:61], v[64:65] neg_lo:[0,1] neg_hi:[0,1]
	v_pk_add_f32 v[52:53], v[52:53], v[60:61]
	v_pk_fma_f32 v[54:55], v[54:55], 0.5, v[56:57] op_sel_hi:[1,0,1] neg_lo:[1,0,0] neg_hi:[1,0,0]
	v_pk_mul_f32 v[114:115], v[80:81], s[14:15] op_sel_hi:[1,0]
	v_pk_add_f32 v[78:79], v[68:69], v[60:61] neg_lo:[0,1] neg_hi:[0,1]
	v_pk_add_f32 v[82:83], v[72:73], v[64:65] neg_lo:[0,1] neg_hi:[0,1]
	v_pk_add_f32 v[86:87], v[58:59], v[70:71]
	v_pk_add_f32 v[88:89], v[62:63], v[66:67]
	v_pk_add_f32 v[94:95], v[70:71], v[74:75] neg_lo:[0,1] neg_hi:[0,1]
	v_pk_mul_f32 v[98:99], v[76:77], s[6:7] op_sel_hi:[1,0]
	v_pk_add_f32 v[52:53], v[52:53], v[64:65]
	v_pk_add_f32 v[118:119], v[54:55], v[114:115] op_sel:[0,1] op_sel_hi:[1,0]
	v_pk_add_f32 v[54:55], v[54:55], v[114:115] op_sel:[0,1] op_sel_hi:[1,0] neg_lo:[0,1] neg_hi:[0,1]
	v_mov_b32_e32 v125, v66
	v_mov_b32_e32 v126, v70
	;; [unrolled: 1-line block ×3, first 2 shown]
	v_pk_add_f32 v[84:85], v[62:63], v[66:67] neg_lo:[0,1] neg_hi:[0,1]
	v_pk_add_f32 v[78:79], v[78:79], v[82:83]
	v_pk_add_f32 v[82:83], v[86:87], v[62:63]
	v_pk_fma_f32 v[86:87], v[88:89], 0.5, v[58:59] op_sel_hi:[1,0,1] neg_lo:[1,0,0] neg_hi:[1,0,0]
	v_pk_mul_f32 v[116:117], v[94:95], s[14:15] op_sel_hi:[1,0]
	v_pk_add_f32 v[120:121], v[52:53], v[72:73]
	v_pk_add_f32 v[52:53], v[54:55], v[98:99] op_sel:[0,1] op_sel_hi:[1,0] neg_lo:[0,1] neg_hi:[0,1]
	v_pk_add_f32 v[54:55], v[118:119], v[98:99] op_sel:[0,1] op_sel_hi:[1,0]
	v_pk_add_f32 v[124:125], v[124:125], v[126:127] neg_lo:[0,1] neg_hi:[0,1]
	v_pk_add_f32 v[90:91], v[70:71], v[62:63] neg_lo:[0,1] neg_hi:[0,1]
	v_pk_mul_f32 v[88:89], v[84:85], s[6:7] op_sel_hi:[1,0]
	v_pk_add_f32 v[114:115], v[86:87], v[116:117] op_sel:[0,1] op_sel_hi:[1,0]
	v_mov_b32_e32 v98, v54
	v_pk_add_f32 v[118:119], v[74:75], v[66:67] neg_lo:[0,1] neg_hi:[0,1]
	v_mov_b32_e32 v54, v125
	v_pk_add_f32 v[82:83], v[82:83], v[66:67]
	v_mov_b32_e32 v99, v53
	v_pk_add_f32 v[114:115], v[88:89], v[114:115] op_sel:[1,0] op_sel_hi:[0,1]
	v_pk_add_f32 v[90:91], v[90:91], v[118:119]
	v_pk_add_f32 v[122:123], v[70:71], v[74:75]
	;; [unrolled: 1-line block ×4, first 2 shown]
	v_mov_b32_e32 v66, v63
	v_mov_b32_e32 v74, v71
	v_pk_fma_f32 v[98:99], v[78:79], s[12:13], v[98:99] op_sel_hi:[1,0,1]
	v_pk_fma_f32 v[118:119], v[90:91], s[12:13], v[114:115] op_sel_hi:[1,0,1]
	v_fma_f32 v51, -0.5, v122, v58
	v_mov_b32_e32 v125, v95
	s_mov_b32 s13, s6
	v_pk_add_f32 v[66:67], v[66:67], v[74:75] neg_lo:[0,1] neg_hi:[0,1]
	v_fmamk_f32 v53, v85, 0x3f737871, v51
	v_pk_mul_f32 v[124:125], v[124:125], s[12:13]
	v_fmac_f32_e32 v51, 0xbf737871, v85
	v_mov_b32_e32 v54, v67
	v_add_f32_e32 v51, v125, v51
	v_pk_add_f32 v[86:87], v[86:87], v[116:117] op_sel:[0,1] op_sel_hi:[1,0] neg_lo:[0,1] neg_hi:[0,1]
	v_pk_add_f32 v[66:67], v[66:67], v[54:55]
	v_sub_f32_e32 v53, v53, v125
	v_add_f32_e32 v62, v124, v51
	v_pk_add_f32 v[86:87], v[86:87], v[88:89] op_sel:[0,1] op_sel_hi:[1,0] neg_lo:[0,1] neg_hi:[0,1]
	v_fma_f32 v51, -0.5, v123, v59
	v_mov_b32_e32 v67, v94
	v_add_f32_e32 v58, v124, v53
	v_mov_b32_e32 v114, v86
	v_fmamk_f32 v53, v84, 0xbf737871, v51
	v_pk_mul_f32 v[66:67], v[66:67], s[12:13]
	v_fmac_f32_e32 v51, 0x3f737871, v84
	v_pk_fma_f32 v[88:89], v[90:91], s[12:13], v[114:115] op_sel_hi:[1,0,1]
	v_add_f32_e32 v53, v67, v53
	v_sub_f32_e32 v51, v51, v67
	v_add_f32_e32 v70, v66, v53
	v_add_f32_e32 v66, v66, v51
	v_pk_mul_f32 v[74:75], v[88:89], s[6:7] op_sel_hi:[1,0]
	s_mov_b32 s15, s12
	v_pk_fma_f32 v[84:85], v[88:89], s[18:19], v[74:75] op_sel:[0,0,1] op_sel_hi:[1,0,0] neg_lo:[0,0,1] neg_hi:[0,0,1]
	v_pk_fma_f32 v[74:75], v[88:89], s[18:19], v[74:75] op_sel:[0,0,1] op_sel_hi:[1,0,0]
	v_mov_b32_e32 v53, v55
	s_mov_b32 s18, 0xbe9e377a
	s_mov_b32 s19, s14
	v_pk_mul_f32 v[66:67], v[66:67], s[14:15] op_sel_hi:[0,1]
	v_mov_b32_e32 v85, v75
	v_pk_fma_f32 v[74:75], v[78:79], s[12:13], v[52:53] op_sel_hi:[1,0,1]
	v_pk_fma_f32 v[78:79], v[62:63], s[18:19], v[66:67] op_sel_hi:[0,1,1] neg_lo:[0,0,1] neg_hi:[0,0,1]
	v_pk_add_f32 v[66:67], v[68:69], v[72:73]
	v_pk_mul_f32 v[62:63], v[76:77], s[14:15] op_sel_hi:[1,0]
	v_pk_add_f32 v[60:61], v[60:61], v[68:69] neg_lo:[0,1] neg_hi:[0,1]
	v_pk_fma_f32 v[56:57], v[66:67], 0.5, v[56:57] op_sel_hi:[1,0,1] neg_lo:[1,0,0] neg_hi:[1,0,0]
	v_pk_add_f32 v[64:65], v[64:65], v[72:73] neg_lo:[0,1] neg_hi:[0,1]
	v_pk_mul_f32 v[66:67], v[80:81], s[6:7] op_sel_hi:[1,0]
	v_pk_add_f32 v[60:61], v[60:61], v[64:65]
	v_pk_add_f32 v[64:65], v[56:57], v[62:63] op_sel:[0,1] op_sel_hi:[1,0] neg_lo:[0,1] neg_hi:[0,1]
	v_pk_add_f32 v[56:57], v[56:57], v[62:63] op_sel:[0,1] op_sel_hi:[1,0]
	v_pk_add_f32 v[62:63], v[64:65], v[66:67] op_sel:[0,1] op_sel_hi:[1,0]
	v_pk_add_f32 v[56:57], v[56:57], v[66:67] op_sel:[0,1] op_sel_hi:[1,0] neg_lo:[0,1] neg_hi:[0,1]
	v_mov_b32_e32 v64, v62
	v_mov_b32_e32 v65, v57
	v_pk_fma_f32 v[86:87], v[90:91], s[12:13], v[86:87] op_sel_hi:[1,0,1]
	v_pk_fma_f32 v[68:69], v[60:61], s[12:13], v[64:65] op_sel_hi:[1,0,1]
	s_mov_b32 s13, s14
	v_pk_mul_f32 v[64:65], v[70:71], s[14:15] op_sel_hi:[0,1]
	v_mov_b32_e32 v57, v63
	v_pk_fma_f32 v[66:67], v[58:59], s[12:13], v[64:65] neg_lo:[0,0,1] neg_hi:[0,0,1]
	v_pk_fma_f32 v[58:59], v[58:59], s[12:13], v[64:65] op_sel_hi:[0,1,1]
	v_pk_fma_f32 v[70:71], v[60:61], s[12:13], v[56:57] op_sel_hi:[1,0,1]
	s_mov_b32 s12, 0xbf4f1bbd
	s_mov_b32 s13, s6
	s_mov_b32 s6, 0xbf167918
	s_mov_b32 s7, s12
	v_pk_mul_f32 v[60:61], v[86:87], s[6:7] op_sel:[1,0]
	v_mov_b32_e32 v67, v59
	v_pk_fma_f32 v[72:73], v[118:119], s[12:13], v[60:61] op_sel_hi:[0,1,1]
	v_pk_add_f32 v[52:53], v[120:121], v[82:83]
	v_pk_add_f32 v[54:55], v[74:75], v[84:85]
	;; [unrolled: 1-line block ×5, first 2 shown]
	v_pk_add_f32 v[62:63], v[120:121], v[82:83] neg_lo:[0,1] neg_hi:[0,1]
	v_pk_add_f32 v[64:65], v[74:75], v[84:85] neg_lo:[0,1] neg_hi:[0,1]
	;; [unrolled: 1-line block ×5, first 2 shown]
	s_barrier
	ds_write_b128 v208, v[52:55]
	ds_write_b128 v208, v[56:59] offset:16
	ds_write_b128 v208, v[60:63] offset:32
	;; [unrolled: 1-line block ×4, first 2 shown]
	s_waitcnt lgkmcnt(0)
	s_barrier
	s_waitcnt lgkmcnt(0)
                                        ; implicit-def: $vgpr72
	s_and_saveexec_b64 s[6:7], s[2:3]
	s_xor_b64 s[2:3], exec, s[6:7]
; %bb.12:
	v_mov_b32_e32 v72, v113
; %bb.13:
	s_andn2_saveexec_b64 s[2:3], s[2:3]
	s_cbranch_execz .LBB0_15
; %bb.14:
	v_add_u32_e32 v48, 0x800, v92
	ds_read2_b64 v[56:59], v48 offset0:24 offset1:164
	v_add_u32_e32 v48, 0x1000, v92
	ds_read2_b64 v[60:63], v48 offset0:48 offset1:188
	v_add_u32_e32 v64, 0x1800, v92
	v_add_u32_e32 v48, 0x2a00, v92
	;; [unrolled: 1-line block ×3, first 2 shown]
	ds_read2_b64 v[52:55], v92 offset1:140
	ds_read2_b64 v[48:51], v48 offset0:56 offset1:196
	ds_read_b64 v[72:73], v92 offset:13440
	ds_read2_b64 v[64:67], v64 offset0:72 offset1:212
	ds_read2_b64 v[68:71], v68 offset0:96 offset1:236
	s_waitcnt lgkmcnt(3)
	v_mov_b32_e32 v110, v49
	s_waitcnt lgkmcnt(2)
	v_mov_b32_e32 v111, v73
	v_mov_b32_e32 v49, v72
	;; [unrolled: 1-line block ×3, first 2 shown]
.LBB0_15:
	s_or_b64 exec, exec, s[2:3]
	v_pk_mul_f32 v[74:75], v[28:29], v[54:55]
	v_mov_b32_e32 v76, v29
	v_mov_b32_e32 v74, v75
	v_pk_fma_f32 v[88:89], v[28:29], v[54:55], v[74:75]
	v_mov_b32_e32 v74, v55
	v_pk_mul_f32 v[54:55], v[76:77], v[54:55]
	v_mov_b32_e32 v76, v31
	v_pk_fma_f32 v[54:55], v[28:29], v[74:75], v[54:55] neg_lo:[0,0,1] neg_hi:[0,0,1]
	v_pk_mul_f32 v[28:29], v[30:31], v[56:57]
	v_mov_b32_e32 v74, v57
	v_mov_b32_e32 v28, v29
	v_pk_fma_f32 v[28:29], v[30:31], v[56:57], v[28:29]
	v_pk_mul_f32 v[56:57], v[76:77], v[56:57]
	v_mov_b32_e32 v76, v21
	v_pk_fma_f32 v[56:57], v[30:31], v[74:75], v[56:57] neg_lo:[0,0,1] neg_hi:[0,0,1]
	v_pk_mul_f32 v[30:31], v[20:21], v[58:59]
	v_mov_b32_e32 v74, v59
	v_mov_b32_e32 v30, v31
	v_pk_fma_f32 v[30:31], v[20:21], v[58:59], v[30:31]
	v_pk_mul_f32 v[58:59], v[76:77], v[58:59]
	s_waitcnt lgkmcnt(1)
	v_pk_mul_f32 v[76:77], v[18:19], v[64:65] op_sel:[0,1]
	v_pk_fma_f32 v[58:59], v[20:21], v[74:75], v[58:59] neg_lo:[0,0,1] neg_hi:[0,0,1]
	v_pk_mul_f32 v[20:21], v[22:23], v[60:61] op_sel:[0,1]
	v_pk_mul_f32 v[74:75], v[16:17], v[62:63] op_sel:[0,1]
	;; [unrolled: 1-line block ×3, first 2 shown]
	s_waitcnt lgkmcnt(0)
	v_pk_mul_f32 v[80:81], v[14:15], v[68:69] op_sel:[0,1]
	v_pk_mul_f32 v[84:85], v[26:27], v[110:111] op_sel_hi:[1,0]
	v_pk_mul_f32 v[86:87], v[46:47], v[110:111] op_sel:[0,1]
	v_pk_fma_f32 v[110:111], v[22:23], v[60:61], v[20:21] op_sel:[0,0,1] op_sel_hi:[1,0,0]
	v_pk_fma_f32 v[152:153], v[22:23], v[60:61], v[20:21] op_sel:[0,0,1] op_sel_hi:[1,0,0] neg_lo:[1,0,0] neg_hi:[1,0,0]
	v_pk_fma_f32 v[60:61], v[16:17], v[62:63], v[74:75] op_sel:[0,0,1] op_sel_hi:[1,0,0]
	v_pk_fma_f32 v[134:135], v[16:17], v[62:63], v[74:75] op_sel:[0,0,1] op_sel_hi:[1,0,0] neg_lo:[1,0,0] neg_hi:[1,0,0]
	;; [unrolled: 2-line block ×5, first 2 shown]
	v_pk_add_f32 v[128:129], v[60:61], v[66:67]
	v_pk_add_f32 v[12:13], v[60:61], v[66:67] neg_lo:[0,1] neg_hi:[0,1]
	v_pk_add_f32 v[18:19], v[134:135], v[138:139]
	v_mov_b32_e32 v129, v12
	v_pk_add_f32 v[12:13], v[134:135], v[138:139] neg_lo:[0,1] neg_hi:[0,1]
	s_mov_b32 s20, 0xbf6f5d39
	v_mov_b32_e32 v18, v13
	s_mov_b32 s21, 0xbeb58ec6
	v_pk_mul_f32 v[14:15], v[18:19], s[20:21]
	v_pk_mul_f32 v[82:83], v[24:25], v[70:71] op_sel:[0,1]
	s_mov_b32 s2, s21
	s_mov_b32 s3, s20
	v_accvgpr_write_b32 a29, v15
	v_pk_mul_f32 v[72:73], v[44:45], v[72:73] op_sel_hi:[1,0]
	v_pk_fma_f32 v[68:69], v[24:25], v[70:71], v[82:83] op_sel:[0,0,1] op_sel_hi:[1,0,0]
	v_pk_fma_f32 v[162:163], v[24:25], v[70:71], v[82:83] op_sel:[0,0,1] op_sel_hi:[1,0,0] neg_lo:[1,0,0] neg_hi:[1,0,0]
	v_pk_fma_f32 v[12:13], v[128:129], s[2:3], v[14:15] neg_lo:[0,0,1] neg_hi:[0,0,1]
	v_accvgpr_write_b32 a28, v14
	v_pk_fma_f32 v[24:25], v[128:129], s[2:3], v[14:15]
	v_pk_add_f32 v[130:131], v[62:63], v[64:65]
	v_pk_add_f32 v[14:15], v[62:63], v[64:65] neg_lo:[0,1] neg_hi:[0,1]
	v_pk_fma_f32 v[114:115], v[44:45], v[50:51], v[72:73] op_sel:[0,0,1] op_sel_hi:[1,0,0]
	v_pk_fma_f32 v[156:157], v[44:45], v[50:51], v[72:73] op_sel:[0,0,1] op_sel_hi:[1,0,0] neg_lo:[1,0,0] neg_hi:[1,0,0]
	v_pk_fma_f32 v[50:51], v[46:47], v[48:49], v[86:87] op_sel:[0,1,1] op_sel_hi:[1,1,0]
	v_mov_b32_e32 v131, v14
	v_pk_add_f32 v[14:15], v[136:137], v[144:145] neg_lo:[0,1] neg_hi:[0,1]
	v_pk_add_f32 v[16:17], v[136:137], v[144:145]
	v_pk_fma_f32 v[154:155], v[46:47], v[48:49], v[86:87] op_sel:[0,1,1] op_sel_hi:[1,1,0] neg_lo:[1,0,0] neg_hi:[1,0,0]
	v_mov_b32_e32 v16, v15
	v_pk_add_f32 v[146:147], v[88:89], v[50:51]
	v_pk_add_f32 v[14:15], v[88:89], v[50:51] neg_lo:[0,1] neg_hi:[0,1]
	v_pk_fma_f32 v[70:71], v[26:27], v[48:49], v[84:85] op_sel:[0,0,1] op_sel_hi:[1,0,0]
	v_pk_fma_f32 v[160:161], v[26:27], v[48:49], v[84:85] op_sel:[0,0,1] op_sel_hi:[1,0,0] neg_lo:[1,0,0] neg_hi:[1,0,0]
	v_mov_b32_e32 v147, v14
	v_pk_add_f32 v[20:21], v[54:55], v[154:155] op_sel:[0,1] neg_lo:[0,1] neg_hi:[0,1]
	v_pk_add_f32 v[14:15], v[54:55], v[154:155] op_sel_hi:[0,1]
	v_pk_add_f32 v[158:159], v[28:29], v[114:115]
	v_pk_add_f32 v[26:27], v[28:29], v[114:115] neg_lo:[0,1] neg_hi:[0,1]
	v_mov_b32_e32 v21, v15
	s_mov_b32 s35, 0x3f62ad3f
	s_mov_b32 s34, 0xbeedf032
	v_mov_b32_e32 v159, v26
	v_pk_add_f32 v[72:73], v[56:57], v[156:157] op_sel:[0,1] neg_lo:[0,1] neg_hi:[0,1]
	v_pk_add_f32 v[26:27], v[56:57], v[156:157] op_sel_hi:[0,1]
	s_mov_b32 s38, 0xbf52af12
	v_pk_add_f32 v[178:179], v[30:31], v[70:71]
	v_pk_add_f32 v[78:79], v[30:31], v[70:71] neg_lo:[0,1] neg_hi:[0,1]
	v_pk_mul_f32 v[46:47], v[20:21], s[34:35]
	s_mov_b32 s22, s35
	s_mov_b32 s23, s34
	v_mov_b32_e32 v73, v27
	s_mov_b32 s39, 0x3f116cb1
	v_mov_b32_e32 v179, v78
	v_pk_add_f32 v[78:79], v[58:59], v[160:161] op_sel:[0,1] neg_lo:[0,1] neg_hi:[0,1]
	v_pk_add_f32 v[80:81], v[58:59], v[160:161] op_sel_hi:[0,1]
	s_mov_b32 s48, 0xbf7e222b
	v_pk_fma_f32 v[14:15], v[146:147], s[22:23], v[46:47] neg_lo:[0,0,1] neg_hi:[0,0,1]
	v_pk_fma_f32 v[48:49], v[146:147], s[22:23], v[46:47]
	v_pk_mul_f32 v[124:125], v[72:73], s[38:39]
	s_mov_b32 s6, s39
	s_mov_b32 s7, s38
	v_mov_b32_e32 v79, v81
	s_mov_b32 s49, 0x3df6dbef
	v_mov_b32_e32 v15, v49
	v_pk_fma_f32 v[26:27], v[158:159], s[6:7], v[124:125] neg_lo:[0,0,1] neg_hi:[0,0,1]
	v_pk_fma_f32 v[126:127], v[158:159], s[6:7], v[124:125]
	s_mov_b32 s37, 0xbf788fa5
	s_mov_b32 s36, 0xbe750f2a
	v_pk_mul_f32 v[140:141], v[78:79], s[48:49]
	s_mov_b32 s14, s49
	s_mov_b32 s15, s48
	v_pk_add_f32 v[14:15], v[52:53], v[14:15]
	v_mov_b32_e32 v27, v127
	v_pk_mul_f32 v[188:189], v[20:21], s[36:37]
	s_mov_b32 s18, s37
	s_mov_b32 s19, s36
	s_mov_b32 s34, 0x3eedf032
	v_pk_fma_f32 v[80:81], v[178:179], s[14:15], v[140:141] neg_lo:[0,0,1] neg_hi:[0,0,1]
	v_pk_fma_f32 v[142:143], v[178:179], s[14:15], v[140:141]
	v_pk_add_f32 v[14:15], v[26:27], v[14:15]
	v_pk_fma_f32 v[74:75], v[146:147], s[18:19], v[188:189] neg_lo:[0,0,1] neg_hi:[0,0,1]
	v_pk_fma_f32 v[26:27], v[146:147], s[18:19], v[188:189]
	v_pk_mul_f32 v[190:191], v[72:73], s[34:35]
	s_mov_b32 s12, s35
	s_mov_b32 s13, s34
	v_mov_b32_e32 v81, v143
	s_mov_b32 s46, 0xbf29c268
	v_pk_fma_f32 v[76:77], v[158:159], s[12:13], v[190:191] neg_lo:[0,0,1] neg_hi:[0,0,1]
	v_pk_fma_f32 v[44:45], v[158:159], s[12:13], v[190:191]
	v_pk_add_f32 v[14:15], v[80:81], v[14:15]
	v_pk_add_f32 v[80:81], v[110:111], v[68:69] neg_lo:[0,1] neg_hi:[0,1]
	v_mov_b32_e32 v75, v27
	s_mov_b32 s47, 0xbf3f9e67
	v_mov_b32_e32 v209, v80
	v_pk_add_f32 v[80:81], v[152:153], v[162:163] neg_lo:[0,1] neg_hi:[0,1]
	v_pk_add_f32 v[132:133], v[152:153], v[162:163]
	v_pk_add_f32 v[74:75], v[52:53], v[74:75]
	v_mov_b32_e32 v77, v45
	v_pk_mul_f32 v[116:117], v[78:79], s[46:47]
	s_mov_b32 s24, s47
	s_mov_b32 s25, s46
	v_pk_add_f32 v[94:95], v[110:111], v[68:69]
	v_mov_b32_e32 v132, v81
	v_pk_add_f32 v[74:75], v[76:77], v[74:75]
	v_pk_fma_f32 v[76:77], v[178:179], s[24:25], v[116:117] neg_lo:[0,0,1] neg_hi:[0,0,1]
	v_pk_fma_f32 v[118:119], v[178:179], s[24:25], v[116:117]
	s_mov_b32 s50, 0x3f52af12
	s_mov_b32 s51, s39
	v_pk_mul_f32 v[198:199], v[20:21], s[48:49]
	v_accvgpr_write_b32 a24, v54
	v_mov_b32_e32 v208, v94
	v_mov_b32_e32 v77, v119
	v_pk_mul_f32 v[120:121], v[132:133], s[50:51]
	s_mov_b32 s26, s39
	s_mov_b32 s27, s50
	v_pk_fma_f32 v[54:55], v[146:147], s[14:15], v[198:199] neg_lo:[0,0,1] neg_hi:[0,0,1]
	v_pk_fma_f32 v[196:197], v[146:147], s[14:15], v[198:199]
	v_pk_mul_f32 v[202:203], v[72:73], s[36:37]
	v_accvgpr_write_b32 a32, v56
	v_pk_mul_f32 v[150:151], v[132:133], s[20:21]
	v_pk_add_f32 v[74:75], v[76:77], v[74:75]
	v_pk_fma_f32 v[76:77], v[208:209], s[26:27], v[120:121] neg_lo:[0,0,1] neg_hi:[0,0,1]
	v_pk_fma_f32 v[122:123], v[208:209], s[26:27], v[120:121]
	v_mov_b32_e32 v55, v197
	v_pk_fma_f32 v[56:57], v[158:159], s[18:19], v[202:203] neg_lo:[0,0,1] neg_hi:[0,0,1]
	v_pk_fma_f32 v[200:201], v[158:159], s[18:19], v[202:203]
	s_mov_b32 s42, 0x3f6f5d39
	s_mov_b32 s43, s21
	v_pk_fma_f32 v[80:81], v[208:209], s[2:3], v[150:151] neg_lo:[0,0,1] neg_hi:[0,0,1]
	v_pk_fma_f32 v[148:149], v[208:209], s[2:3], v[150:151]
	v_mov_b32_e32 v77, v123
	v_pk_mul_f32 v[166:167], v[18:19], s[46:47]
	v_pk_add_f32 v[54:55], v[52:53], v[54:55]
	v_mov_b32_e32 v57, v201
	v_pk_mul_f32 v[204:205], v[78:79], s[42:43]
	s_mov_b32 s40, s21
	s_mov_b32 s41, s42
	v_mov_b32_e32 v13, v25
	v_mov_b32_e32 v81, v149
	v_pk_add_f32 v[74:75], v[76:77], v[74:75]
	v_pk_fma_f32 v[76:77], v[128:129], s[24:25], v[166:167] neg_lo:[0,0,1] neg_hi:[0,0,1]
	v_pk_fma_f32 v[164:165], v[128:129], s[24:25], v[166:167]
	v_pk_mul_f32 v[170:171], v[16:17], s[36:37]
	v_pk_add_f32 v[54:55], v[56:57], v[54:55]
	v_pk_fma_f32 v[56:57], v[178:179], s[40:41], v[204:205] neg_lo:[0,0,1] neg_hi:[0,0,1]
	v_pk_fma_f32 v[206:207], v[178:179], s[40:41], v[204:205]
	v_pk_add_f32 v[14:15], v[80:81], v[14:15]
	v_mov_b32_e32 v77, v165
	v_pk_add_f32 v[22:23], v[12:13], v[74:75]
	v_pk_fma_f32 v[12:13], v[130:131], s[18:19], v[170:171] neg_lo:[0,0,1] neg_hi:[0,0,1]
	v_pk_fma_f32 v[168:169], v[130:131], s[18:19], v[170:171]
	v_mov_b32_e32 v57, v207
	v_pk_mul_f32 v[216:217], v[132:133], s[34:35]
	v_pk_add_f32 v[14:15], v[76:77], v[14:15]
	v_mov_b32_e32 v13, v169
	v_pk_mul_f32 v[176:177], v[18:19], s[38:39]
	v_pk_add_f32 v[54:55], v[56:57], v[54:55]
	v_pk_fma_f32 v[56:57], v[208:209], s[12:13], v[216:217] neg_lo:[0,0,1] neg_hi:[0,0,1]
	v_pk_fma_f32 v[214:215], v[208:209], s[12:13], v[216:217]
	v_pk_add_f32 v[12:13], v[12:13], v[14:15]
	v_pk_fma_f32 v[14:15], v[128:129], s[6:7], v[176:177] neg_lo:[0,0,1] neg_hi:[0,0,1]
	v_pk_fma_f32 v[174:175], v[128:129], s[6:7], v[176:177]
	v_mov_b32_e32 v57, v215
	v_mov_b32_e32 v15, v175
	v_pk_add_f32 v[54:55], v[56:57], v[54:55]
	v_pk_mul_f32 v[212:213], v[16:17], s[46:47]
	v_pk_add_f32 v[14:15], v[14:15], v[54:55]
	v_pk_fma_f32 v[54:55], v[130:131], s[24:25], v[212:213] neg_lo:[0,0,1] neg_hi:[0,0,1]
	v_pk_fma_f32 v[210:211], v[130:131], s[24:25], v[212:213]
	s_mov_b32 s52, 0x3f29c268
	s_mov_b32 s53, s47
	v_mov_b32_e32 v55, v211
	v_pk_mul_f32 v[220:221], v[20:21], s[20:21]
	s_mov_b32 s30, s47
	s_mov_b32 s31, s52
	v_pk_add_f32 v[14:15], v[54:55], v[14:15]
	v_pk_fma_f32 v[54:55], v[146:147], s[2:3], v[220:221] neg_lo:[0,0,1] neg_hi:[0,0,1]
	v_pk_fma_f32 v[218:219], v[146:147], s[2:3], v[220:221]
	v_pk_mul_f32 v[224:225], v[72:73], s[52:53]
	v_mov_b32_e32 v55, v219
	v_pk_fma_f32 v[56:57], v[158:159], s[30:31], v[224:225] neg_lo:[0,0,1] neg_hi:[0,0,1]
	v_pk_fma_f32 v[222:223], v[158:159], s[30:31], v[224:225]
	v_pk_add_f32 v[54:55], v[52:53], v[54:55]
	v_mov_b32_e32 v57, v223
	v_pk_mul_f32 v[228:229], v[78:79], s[34:35]
	v_pk_add_f32 v[54:55], v[56:57], v[54:55]
	v_pk_fma_f32 v[56:57], v[178:179], s[12:13], v[228:229] neg_lo:[0,0,1] neg_hi:[0,0,1]
	v_pk_fma_f32 v[226:227], v[178:179], s[12:13], v[228:229]
	v_accvgpr_write_b32 a30, v88
	s_mov_b32 s44, 0x3f7e222b
	s_mov_b32 s45, s49
	v_pk_mul_f32 v[248:249], v[20:21], s[38:39]
	v_pk_mul_f32 v[252:253], v[78:79], s[36:37]
	s_mov_b32 s36, 0x3e750f2a
	v_mov_b32_e32 v57, v227
	v_pk_mul_f32 v[238:239], v[132:133], s[48:49]
	v_pk_mul_f32 v[90:91], v[20:21], s[46:47]
	v_accvgpr_write_b32 a31, v89
	s_mov_b32 s28, s49
	s_mov_b32 s29, s44
	v_pk_fma_f32 v[180:181], v[146:147], s[6:7], v[248:249]
	v_pk_mul_f32 v[250:251], v[72:73], s[20:21]
	v_accvgpr_write_b32 a37, v15
	v_pk_mul_f32 v[192:193], v[18:19], s[36:37]
	s_mov_b32 s42, s37
	s_mov_b32 s43, s36
	v_pk_add_f32 v[54:55], v[56:57], v[54:55]
	v_pk_fma_f32 v[56:57], v[208:209], s[14:15], v[238:239] neg_lo:[0,0,1] neg_hi:[0,0,1]
	v_pk_fma_f32 v[234:235], v[208:209], s[14:15], v[238:239]
	v_pk_fma_f32 v[20:21], v[146:147], s[24:25], v[90:91] neg_lo:[0,0,1] neg_hi:[0,0,1]
	v_pk_mul_f32 v[88:89], v[72:73], s[44:45]
	v_pk_fma_f32 v[182:183], v[158:159], s[2:3], v[250:251]
	v_accvgpr_write_b32 a36, v14
	v_pk_fma_f32 v[14:15], v[128:129], s[42:43], v[192:193] neg_lo:[0,0,1] neg_hi:[0,0,1]
	v_pk_fma_f32 v[194:195], v[128:129], s[42:43], v[192:193]
	v_mov_b32_e32 v57, v235
	v_pk_fma_f32 v[72:73], v[158:159], s[28:29], v[88:89] neg_lo:[0,0,1] neg_hi:[0,0,1]
	v_pk_mul_f32 v[84:85], v[78:79], s[38:39]
	v_mov_b32_e32 v21, v181
	v_pk_fma_f32 v[184:185], v[178:179], s[18:19], v[252:253]
	v_pk_mul_f32 v[254:255], v[16:17], s[34:35]
	v_mov_b32_e32 v15, v195
	v_pk_add_f32 v[54:55], v[56:57], v[54:55]
	v_pk_mul_f32 v[232:233], v[16:17], s[50:51]
	v_pk_mul_f32 v[80:81], v[18:19], s[34:35]
	v_pk_fma_f32 v[78:79], v[178:179], s[6:7], v[84:85] neg_lo:[0,0,1] neg_hi:[0,0,1]
	v_pk_mul_f32 v[82:83], v[132:133], s[36:37]
	v_pk_add_f32 v[20:21], v[52:53], v[20:21]
	v_mov_b32_e32 v73, v183
	s_mov_b32 s34, s37
	s_mov_b32 s37, s47
	v_pk_add_f32 v[14:15], v[14:15], v[54:55]
	v_pk_fma_f32 v[54:55], v[130:131], s[26:27], v[232:233] neg_lo:[0,0,1] neg_hi:[0,0,1]
	v_pk_fma_f32 v[230:231], v[130:131], s[26:27], v[232:233]
	v_pk_add_f32 v[20:21], v[72:73], v[20:21]
	v_mov_b32_e32 v79, v185
	s_mov_b32 s35, s52
	v_pk_mul_f32 v[72:73], v[132:133], s[36:37]
	v_pk_fma_f32 v[242:243], v[146:147], s[6:7], v[248:249] neg_lo:[0,0,1] neg_hi:[0,0,1]
	v_mov_b32_e32 v55, v231
	v_pk_fma_f32 v[112:113], v[146:147], s[24:25], v[90:91]
	v_pk_add_f32 v[20:21], v[78:79], v[20:21]
	v_pk_fma_f32 v[78:79], v[94:95], s[34:35], v[72:73] neg_lo:[0,0,1] neg_hi:[0,0,1]
	v_pk_fma_f32 v[72:73], v[208:209], s[34:35], v[72:73]
	v_pk_fma_f32 v[244:245], v[158:159], s[2:3], v[250:251] neg_lo:[0,0,1] neg_hi:[0,0,1]
	v_pk_mul_f32 v[76:77], v[132:133], s[52:53]
	v_pk_mul_f32 v[98:99], v[208:209], s[30:31]
	v_pk_add_f32 v[14:15], v[54:55], v[14:15]
	v_pk_fma_f32 v[54:55], v[158:159], s[28:29], v[88:89]
	v_pk_mul_f32 v[86:87], v[208:209], s[42:43]
	v_mov_b32_e32 v79, v73
	v_mov_b32_e32 v243, v113
	v_pk_fma_f32 v[246:247], v[178:179], s[18:19], v[252:253] neg_lo:[0,0,1] neg_hi:[0,0,1]
	v_pk_fma_f32 v[56:57], v[178:179], s[6:7], v[84:85]
	v_pk_add_f32 v[20:21], v[78:79], v[20:21]
	v_pk_add_f32 v[72:73], v[52:53], v[242:243]
	v_mov_b32_e32 v245, v55
	v_mov_b32_e32 v78, v87
	;; [unrolled: 1-line block ×5, first 2 shown]
	v_pk_mul_f32 v[240:241], v[18:19], s[44:45]
	v_pk_add_f32 v[72:73], v[244:245], v[72:73]
	v_mov_b32_e32 v247, v57
	v_pk_add_f32 v[132:133], v[78:79], v[94:95]
	v_pk_add_f32 v[78:79], v[78:79], v[94:95] neg_lo:[0,1] neg_hi:[0,1]
	v_pk_fma_f32 v[74:75], v[128:129], s[28:29], v[240:241] neg_lo:[0,0,1] neg_hi:[0,0,1]
	v_pk_fma_f32 v[172:173], v[128:129], s[28:29], v[240:241]
	v_pk_fma_f32 v[18:19], v[128:129], s[12:13], v[80:81] neg_lo:[0,0,1] neg_hi:[0,0,1]
	v_pk_fma_f32 v[236:237], v[128:129], s[12:13], v[80:81]
	v_pk_add_f32 v[72:73], v[246:247], v[72:73]
	v_mov_b32_e32 v133, v79
	v_pk_add_f32 v[72:73], v[132:133], v[72:73] op_sel:[0,1] op_sel_hi:[1,0]
	v_mov_b32_e32 v19, v173
	v_mov_b32_e32 v78, v237
	;; [unrolled: 1-line block ×3, first 2 shown]
	v_pk_mul_f32 v[94:95], v[16:17], s[20:21]
	v_pk_fma_f32 v[186:187], v[130:131], s[12:13], v[254:255]
	v_pk_add_f32 v[18:19], v[18:19], v[20:21]
	v_pk_add_f32 v[20:21], v[78:79], v[72:73]
	v_pk_fma_f32 v[72:73], v[130:131], s[2:3], v[94:95] neg_lo:[0,0,1] neg_hi:[0,0,1]
	v_accvgpr_write_b32 a34, v58
	v_pk_fma_f32 v[58:59], v[130:131], s[12:13], v[254:255] neg_lo:[0,0,1] neg_hi:[0,0,1]
	v_mov_b32_e32 v73, v187
	v_pk_fma_f32 v[78:79], v[130:131], s[2:3], v[94:95]
	v_pk_add_f32 v[18:19], v[72:73], v[18:19]
	v_mov_b32_e32 v72, v79
	v_mov_b32_e32 v73, v58
	v_pk_mul_f32 v[74:75], v[16:17], s[44:45]
	v_pk_add_f32 v[20:21], v[72:73], v[20:21]
	v_pk_fma_f32 v[16:17], v[130:131], s[28:29], v[74:75] neg_lo:[0,0,1] neg_hi:[0,0,1]
	v_pk_fma_f32 v[72:73], v[130:131], s[28:29], v[74:75]
	s_nop 0
	v_mov_b32_e32 v17, v73
	v_pk_add_f32 v[16:17], v[16:17], v[22:23]
	s_barrier
	s_and_saveexec_b64 s[20:21], vcc
	s_cbranch_execz .LBB0_17
; %bb.16:
	v_pk_mul_f32 v[246:247], v[208:209], s[2:3]
	v_pk_mul_f32 v[22:23], v[128:129], s[2:3]
	v_accvgpr_write_b32 a46, v246
	v_pk_mul_f32 v[242:243], v[158:159], s[12:13]
	v_accvgpr_write_b32 a47, v247
	;; [unrolled: 2-line block ×3, first 2 shown]
	v_accvgpr_write_b32 a42, v246
	v_pk_add_f32 v[190:191], v[190:191], v[242:243] neg_lo:[0,1] neg_hi:[0,1]
	v_accvgpr_write_b32 a38, v22
	v_pk_mul_f32 v[22:23], v[146:147], s[22:23]
	v_pk_mul_f32 v[132:133], v[146:147], s[18:19]
	v_accvgpr_write_b32 a43, v247
	v_pk_mul_f32 v[246:247], v[208:209], s[26:27]
	v_mov_b32_e32 v111, v153
	v_pk_mul_f32 v[152:153], v[146:147], s[6:7]
	v_mov_b32_e32 v63, v137
	v_pk_mul_f32 v[136:137], v[146:147], s[14:15]
	v_mov_b32_e32 v45, v191
	v_pk_mul_f32 v[190:191], v[146:147], s[2:3]
	v_pk_mul_f32 v[146:147], v[146:147], s[24:25]
	;; [unrolled: 1-line block ×3, first 2 shown]
	v_accvgpr_write_b32 a40, v246
	v_mov_b32_e32 v71, v161
	v_pk_mul_f32 v[160:161], v[158:159], s[2:3]
	v_mov_b32_e32 v67, v139
	v_pk_mul_f32 v[138:139], v[158:159], s[18:19]
	v_pk_add_f32 v[90:91], v[90:91], v[146:147] neg_lo:[0,1] neg_hi:[0,1]
	v_pk_mul_f32 v[146:147], v[158:159], s[30:31]
	v_pk_mul_f32 v[158:159], v[158:159], s[28:29]
	v_accvgpr_write_b32 a41, v247
	v_pk_mul_f32 v[246:247], v[128:129], s[24:25]
	v_mov_b32_e32 v69, v163
	v_pk_mul_f32 v[162:163], v[128:129], s[28:29]
	v_mov_b32_e32 v65, v145
	v_pk_mul_f32 v[144:145], v[128:129], s[6:7]
	v_pk_mul_f32 v[242:243], v[128:129], s[42:43]
	v_pk_add_f32 v[88:89], v[88:89], v[158:159] neg_lo:[0,1] neg_hi:[0,1]
	v_pk_mul_f32 v[128:129], v[128:129], s[12:13]
	v_mov_b32_e32 v55, v89
	v_pk_mul_f32 v[88:89], v[130:131], s[2:3]
	v_pk_add_f32 v[80:81], v[80:81], v[128:129] neg_lo:[0,1] neg_hi:[0,1]
	v_mov_b32_e32 v115, v157
	v_mov_b32_e32 v237, v81
	v_pk_add_f32 v[80:81], v[94:95], v[88:89] neg_lo:[0,1] neg_hi:[0,1]
	v_pk_mul_f32 v[156:157], v[178:179], s[18:19]
	v_mov_b32_e32 v79, v81
	v_pk_add_f32 v[80:81], v[248:249], v[152:153] neg_lo:[0,1] neg_hi:[0,1]
	v_pk_mul_f32 v[244:245], v[178:179], s[14:15]
	v_mov_b32_e32 v181, v81
	v_pk_add_f32 v[80:81], v[250:251], v[160:161] neg_lo:[0,1] neg_hi:[0,1]
	v_mov_b32_e32 v61, v135
	v_pk_mul_f32 v[134:135], v[178:179], s[40:41]
	v_mov_b32_e32 v113, v91
	v_pk_mul_f32 v[90:91], v[178:179], s[12:13]
	v_pk_mul_f32 v[178:179], v[178:179], s[6:7]
	v_mov_b32_e32 v183, v81
	v_pk_add_f32 v[80:81], v[252:253], v[156:157] neg_lo:[0,1] neg_hi:[0,1]
	v_pk_add_f32 v[84:85], v[84:85], v[178:179] neg_lo:[0,1] neg_hi:[0,1]
	v_mov_b32_e32 v185, v81
	v_pk_add_f32 v[80:81], v[76:77], v[98:99]
	v_pk_add_f32 v[76:77], v[76:77], v[98:99] neg_lo:[0,1] neg_hi:[0,1]
	v_mov_b32_e32 v51, v155
	v_pk_mul_f32 v[154:155], v[130:131], s[12:13]
	v_mov_b32_e32 v57, v85
	v_pk_add_f32 v[84:85], v[82:83], v[86:87]
	v_pk_add_f32 v[82:83], v[82:83], v[86:87] neg_lo:[0,1] neg_hi:[0,1]
	v_mov_b32_e32 v81, v77
	v_pk_add_f32 v[76:77], v[240:241], v[162:163] neg_lo:[0,1] neg_hi:[0,1]
	v_mov_b32_e32 v85, v83
	v_mov_b32_e32 v173, v77
	v_pk_add_f32 v[76:77], v[254:255], v[154:155] neg_lo:[0,1] neg_hi:[0,1]
	v_accvgpr_read_b32 v25, a24
	v_accvgpr_read_b32 v83, a31
	v_mov_b32_e32 v187, v77
	v_pk_add_f32 v[76:77], v[24:25], v[52:53]
	v_accvgpr_read_b32 v82, a30
	v_accvgpr_read_b32 v25, a22
	v_pk_add_f32 v[82:83], v[52:53], v[82:83]
	v_mul_u32_u24_e32 v25, 0x82, v25
	v_accvgpr_read_b32 v29, a23
	v_add_lshl_u32 v76, v25, v29, 3
	v_accvgpr_read_b32 v29, a32
	v_mov_b32_e32 v83, v77
	v_pk_add_f32 v[28:29], v[28:29], v[82:83]
	v_accvgpr_read_b32 v31, a34
	v_pk_add_f32 v[28:29], v[30:31], v[28:29]
	v_pk_add_f32 v[30:31], v[124:125], v[58:59] neg_lo:[0,1] neg_hi:[0,1]
	v_pk_add_f32 v[28:29], v[110:111], v[28:29]
	v_mov_b32_e32 v127, v31
	v_pk_add_f32 v[30:31], v[140:141], v[244:245] neg_lo:[0,1] neg_hi:[0,1]
	v_pk_add_f32 v[28:29], v[60:61], v[28:29]
	v_mov_b32_e32 v143, v31
	v_accvgpr_read_b32 v30, a46
	v_pk_add_f32 v[22:23], v[46:47], v[22:23] neg_lo:[0,1] neg_hi:[0,1]
	v_accvgpr_read_b32 v31, a47
	v_accvgpr_write_b32 a44, v246
	v_pk_add_f32 v[28:29], v[62:63], v[28:29]
	v_mov_b32_e32 v49, v23
	v_pk_add_f32 v[30:31], v[150:151], v[30:31] neg_lo:[0,1] neg_hi:[0,1]
	v_accvgpr_write_b32 a45, v247
	v_pk_add_f32 v[28:29], v[64:65], v[28:29]
	v_pk_add_f32 v[22:23], v[52:53], v[48:49]
	v_mov_b32_e32 v149, v31
	v_accvgpr_read_b32 v30, a44
	v_pk_add_f32 v[28:29], v[66:67], v[28:29]
	v_pk_add_f32 v[22:23], v[126:127], v[22:23]
	v_accvgpr_read_b32 v31, a45
	v_pk_mul_f32 v[246:247], v[130:131], s[18:19]
	v_pk_add_f32 v[28:29], v[68:69], v[28:29]
	v_pk_add_f32 v[22:23], v[142:143], v[22:23]
	v_pk_add_f32 v[30:31], v[166:167], v[30:31] neg_lo:[0,1] neg_hi:[0,1]
	v_pk_add_f32 v[28:29], v[70:71], v[28:29]
	v_pk_add_f32 v[22:23], v[148:149], v[22:23]
	v_mov_b32_e32 v165, v31
	v_pk_add_f32 v[30:31], v[170:171], v[246:247] neg_lo:[0,1] neg_hi:[0,1]
	v_pk_add_f32 v[28:29], v[114:115], v[28:29]
	v_pk_add_f32 v[22:23], v[164:165], v[22:23]
	v_mov_b32_e32 v169, v31
	v_pk_add_f32 v[28:29], v[50:51], v[28:29]
	v_pk_add_f32 v[22:23], v[168:169], v[22:23]
	ds_write2_b64 v76, v[28:29], v[22:23] offset1:10
	v_pk_add_f32 v[28:29], v[198:199], v[136:137] neg_lo:[0,1] neg_hi:[0,1]
	v_pk_add_f32 v[30:31], v[202:203], v[138:139] neg_lo:[0,1] neg_hi:[0,1]
	v_mov_b32_e32 v197, v29
	v_pk_add_f32 v[132:133], v[188:189], v[132:133] neg_lo:[0,1] neg_hi:[0,1]
	v_pk_mul_f32 v[188:189], v[208:209], s[12:13]
	v_pk_add_f32 v[22:23], v[52:53], v[180:181]
	v_pk_add_f32 v[28:29], v[52:53], v[196:197]
	v_mov_b32_e32 v201, v31
	v_pk_add_f32 v[30:31], v[204:205], v[134:135] neg_lo:[0,1] neg_hi:[0,1]
	v_pk_add_f32 v[22:23], v[182:183], v[22:23]
	v_pk_add_f32 v[28:29], v[200:201], v[28:29]
	v_mov_b32_e32 v207, v31
	v_pk_add_f32 v[30:31], v[216:217], v[188:189] neg_lo:[0,1] neg_hi:[0,1]
	v_mov_b32_e32 v27, v133
	v_pk_mul_f32 v[132:133], v[130:131], s[24:25]
	v_pk_add_f32 v[22:23], v[184:185], v[22:23]
	v_pk_add_f32 v[28:29], v[206:207], v[28:29]
	v_mov_b32_e32 v215, v31
	v_pk_add_f32 v[30:31], v[176:177], v[144:145] neg_lo:[0,1] neg_hi:[0,1]
	v_pk_add_f32 v[22:23], v[80:81], v[22:23]
	v_pk_add_f32 v[28:29], v[214:215], v[28:29]
	v_mov_b32_e32 v175, v31
	v_pk_add_f32 v[30:31], v[212:213], v[132:133] neg_lo:[0,1] neg_hi:[0,1]
	v_pk_add_f32 v[22:23], v[172:173], v[22:23]
	v_pk_add_f32 v[28:29], v[174:175], v[28:29]
	v_mov_b32_e32 v211, v31
	v_pk_add_f32 v[22:23], v[186:187], v[22:23]
	v_pk_add_f32 v[28:29], v[210:211], v[28:29]
	ds_write2_b64 v76, v[22:23], v[28:29] offset0:20 offset1:30
	v_pk_add_f32 v[28:29], v[224:225], v[146:147] neg_lo:[0,1] neg_hi:[0,1]
	v_pk_mul_f32 v[208:209], v[208:209], s[14:15]
	v_mov_b32_e32 v223, v29
	v_pk_add_f32 v[28:29], v[228:229], v[90:91] neg_lo:[0,1] neg_hi:[0,1]
	v_pk_mul_f32 v[158:159], v[130:131], s[26:27]
	v_mov_b32_e32 v227, v29
	v_pk_add_f32 v[28:29], v[238:239], v[208:209] neg_lo:[0,1] neg_hi:[0,1]
	v_pk_add_f32 v[22:23], v[220:221], v[190:191] neg_lo:[0,1] neg_hi:[0,1]
	v_mov_b32_e32 v235, v29
	v_pk_add_f32 v[28:29], v[192:193], v[242:243] neg_lo:[0,1] neg_hi:[0,1]
	v_mov_b32_e32 v219, v23
	v_mov_b32_e32 v195, v29
	v_pk_add_f32 v[28:29], v[232:233], v[158:159] neg_lo:[0,1] neg_hi:[0,1]
	v_pk_add_f32 v[22:23], v[52:53], v[218:219]
	v_mov_b32_e32 v231, v29
	v_pk_add_f32 v[28:29], v[52:53], v[112:113]
	v_pk_add_f32 v[22:23], v[222:223], v[22:23]
	;; [unrolled: 1-line block ×11, first 2 shown]
	ds_write2_b64 v76, v[22:23], v[28:29] offset0:40 offset1:50
	v_pk_add_f32 v[22:23], v[52:53], v[26:27]
	v_accvgpr_read_b32 v26, a42
	v_accvgpr_read_b32 v27, a43
	v_pk_add_f32 v[26:27], v[116:117], v[26:27] neg_lo:[0,1] neg_hi:[0,1]
	v_accvgpr_read_b32 v28, a38
	v_mov_b32_e32 v119, v27
	v_accvgpr_read_b32 v26, a40
	v_accvgpr_read_b32 v27, a41
	v_pk_add_f32 v[26:27], v[120:121], v[26:27] neg_lo:[0,1] neg_hi:[0,1]
	v_pk_add_f32 v[22:23], v[44:45], v[22:23]
	v_mov_b32_e32 v123, v27
	v_accvgpr_read_b32 v26, a28
	v_accvgpr_read_b32 v27, a29
	;; [unrolled: 1-line block ×3, first 2 shown]
	v_pk_add_f32 v[22:23], v[118:119], v[22:23]
	v_pk_add_f32 v[26:27], v[26:27], v[28:29] neg_lo:[0,1] neg_hi:[0,1]
	v_pk_mul_f32 v[130:131], v[130:131], s[28:29]
	v_pk_add_f32 v[22:23], v[122:123], v[22:23]
	v_mov_b32_e32 v25, v27
	v_pk_add_f32 v[22:23], v[24:25], v[22:23]
	v_pk_add_f32 v[24:25], v[74:75], v[130:131] neg_lo:[0,1] neg_hi:[0,1]
	s_nop 0
	v_mov_b32_e32 v73, v25
	v_pk_add_f32 v[22:23], v[72:73], v[22:23]
	ds_write2_b64 v76, v[22:23], v[16:17] offset0:60 offset1:70
	v_mov_b32_e32 v22, v18
	v_mov_b32_e32 v23, v20
	v_accvgpr_read_b32 v24, a36
	ds_write2_b64 v76, v[22:23], v[14:15] offset0:80 offset1:90
	v_mov_b32_e32 v22, v21
	v_mov_b32_e32 v23, v19
	v_accvgpr_read_b32 v25, a37
	ds_write2_b64 v76, v[24:25], v[22:23] offset0:100 offset1:110
	ds_write_b64 v76, v[12:13] offset:960
.LBB0_17:
	s_or_b64 exec, exec, s[20:21]
	s_waitcnt lgkmcnt(0)
	s_barrier
	ds_read_b64 v[52:53], v92
	ds_read_b64 v[60:61], v92 offset:2080
	ds_read_b64 v[58:59], v92 offset:4160
	;; [unrolled: 1-line block ×6, first 2 shown]
                                        ; implicit-def: $vgpr50_vgpr51
                                        ; implicit-def: $vgpr44_vgpr45
                                        ; implicit-def: $vgpr48_vgpr49
                                        ; implicit-def: $vgpr46_vgpr47
	s_and_saveexec_b64 s[2:3], s[4:5]
	s_xor_b64 s[2:3], exec, s[2:3]
; %bb.18:
	v_accvgpr_read_b32 v22, a36
	v_accvgpr_read_b32 v23, a37
	v_mov_b32_e32 v97, v23
	v_accvgpr_read_b32 v48, a25
	v_mov_b32_e32 v49, v22
	v_mov_b64_e32 v[50:51], v[20:21]
	v_mov_b64_e32 v[44:45], v[18:19]
	;; [unrolled: 1-line block ×3, first 2 shown]
; %bb.19:
	s_andn2_saveexec_b64 s[2:3], s[2:3]
	s_cbranch_execz .LBB0_21
; %bb.20:
	ds_read_b64 v[20:21], v92 offset:7696
	ds_read_b64 v[96:97], v92 offset:13936
	ds_read_b64 v[16:17], v92 offset:1456
	ds_read_b64 v[18:19], v92 offset:3536
	ds_read_b64 v[14:15], v92 offset:5616
	ds_read_b64 v[22:23], v92 offset:9776
	ds_read_b64 v[12:13], v92 offset:11856
	s_waitcnt lgkmcnt(5)
	v_mov_b32_e32 v46, v96
	v_mov_b32_e32 v47, v21
	;; [unrolled: 1-line block ×4, first 2 shown]
	s_waitcnt lgkmcnt(3)
	v_mov_b32_e32 v44, v18
	s_waitcnt lgkmcnt(1)
	v_mov_b32_e32 v45, v23
	v_mov_b32_e32 v50, v19
	;; [unrolled: 1-line block ×3, first 2 shown]
	v_accvgpr_write_b32 a25, v97
	v_mov_b32_e32 v20, v19
.LBB0_21:
	s_or_b64 exec, exec, s[2:3]
	s_waitcnt lgkmcnt(3)
	v_pk_mul_f32 v[78:79], v[36:37], v[64:65] op_sel:[0,1] op_sel_hi:[1,0]
	v_pk_mul_f32 v[66:67], v[32:33], v[60:61] op_sel_hi:[1,0]
	v_mov_b32_e32 v68, v61
	v_mov_b32_e32 v78, v79
	s_waitcnt lgkmcnt(2)
	v_pk_mul_f32 v[80:81], v[38:39], v[62:63] op_sel:[0,1] op_sel_hi:[1,0]
	v_pk_mul_f32 v[70:71], v[34:35], v[58:59] op_sel_hi:[1,0]
	v_mov_b32_e32 v72, v59
	v_pk_mul_f32 v[74:75], v[36:37], v[64:65]
	v_mov_b32_e32 v76, v37
	v_pk_fma_f32 v[36:37], v[36:37], v[64:65], v[78:79] op_sel:[0,1,0] op_sel_hi:[1,0,1] neg_lo:[0,0,1] neg_hi:[0,0,1]
	v_mov_b32_e32 v78, v39
	v_mov_b32_e32 v80, v81
	v_pk_fma_f32 v[68:69], v[32:33], v[68:69], v[66:67] op_sel:[0,0,1] op_sel_hi:[1,1,0] neg_lo:[0,0,1] neg_hi:[0,0,1]
	v_pk_fma_f32 v[32:33], v[32:33], v[60:61], v[66:67] op_sel:[0,1,1] op_sel_hi:[1,1,0]
	v_pk_mul_f32 v[76:77], v[76:77], v[64:65] op_sel:[0,1] op_sel_hi:[1,0]
	v_pk_mul_f32 v[64:65], v[38:39], v[62:63]
	v_pk_mul_f32 v[78:79], v[78:79], v[62:63] op_sel:[0,1] op_sel_hi:[1,0]
	v_pk_fma_f32 v[38:39], v[38:39], v[62:63], v[80:81] op_sel:[0,1,0] op_sel_hi:[1,0,1] neg_lo:[0,0,1] neg_hi:[0,0,1]
	s_waitcnt lgkmcnt(1)
	v_pk_mul_f32 v[62:63], v[40:41], v[56:57] op_sel_hi:[1,0]
	v_mov_b32_e32 v80, v57
	v_mov_b32_e32 v69, v33
	v_pk_fma_f32 v[32:33], v[34:35], v[72:73], v[70:71] op_sel:[0,0,1] op_sel_hi:[1,1,0] neg_lo:[0,0,1] neg_hi:[0,0,1]
	v_pk_fma_f32 v[34:35], v[34:35], v[58:59], v[70:71] op_sel:[0,1,1] op_sel_hi:[1,1,0]
	s_waitcnt lgkmcnt(0)
	v_pk_mul_f32 v[82:83], v[42:43], v[54:55] op_sel_hi:[1,0]
	v_mov_b32_e32 v84, v55
	v_mov_b32_e32 v33, v35
	v_pk_fma_f32 v[34:35], v[40:41], v[80:81], v[62:63] op_sel:[0,0,1] op_sel_hi:[1,1,0] neg_lo:[0,0,1] neg_hi:[0,0,1]
	v_pk_fma_f32 v[40:41], v[40:41], v[56:57], v[62:63] op_sel:[0,1,1] op_sel_hi:[1,1,0]
	v_mov_b32_e32 v65, v68
	v_mov_b32_e32 v35, v41
	v_pk_fma_f32 v[40:41], v[42:43], v[84:85], v[82:83] op_sel:[0,0,1] op_sel_hi:[1,1,0] neg_lo:[0,0,1] neg_hi:[0,0,1]
	v_pk_fma_f32 v[42:43], v[42:43], v[54:55], v[82:83] op_sel:[0,1,1] op_sel_hi:[1,1,0]
	v_mov_b32_e32 v79, v40
	v_mov_b32_e32 v41, v43
	;; [unrolled: 1-line block ×4, first 2 shown]
	v_pk_add_f32 v[42:43], v[68:69], v[40:41]
	v_pk_add_f32 v[54:55], v[68:69], v[40:41] neg_lo:[0,1] neg_hi:[0,1]
	v_pk_add_f32 v[56:57], v[32:33], v[34:35]
	v_pk_add_f32 v[58:59], v[32:33], v[34:35] neg_lo:[0,1] neg_hi:[0,1]
	v_pk_add_f32 v[40:41], v[64:65], v[78:79]
	v_pk_add_f32 v[32:33], v[74:75], v[76:77]
	v_mov_b32_e32 v39, v40
	v_mov_b32_e32 v37, v32
	v_pk_add_f32 v[34:35], v[38:39], v[36:37] neg_lo:[0,1] neg_hi:[0,1]
	v_mov_b32_e32 v66, v57
	v_mov_b32_e32 v67, v36
	;; [unrolled: 1-line block ×4, first 2 shown]
	v_pk_add_f32 v[36:37], v[66:67], v[36:37]
	v_pk_add_f32 v[38:39], v[32:33], v[40:41]
	v_mov_b32_e32 v60, v34
	v_mov_b32_e32 v61, v55
	;; [unrolled: 1-line block ×4, first 2 shown]
	s_mov_b32 s4, 0x3f08b237
	v_mov_b32_e32 v40, v38
	v_mov_b32_e32 v67, v37
	s_mov_b32 s22, 0x3d64c772
	v_pk_add_f32 v[60:61], v[60:61], v[62:63] neg_lo:[0,1] neg_hi:[0,1]
	s_mov_b32 s5, 0xbeae86e6
	v_mov_b32_e32 v62, v54
	v_mov_b32_e32 v64, v34
	v_mov_b32_e32 v65, v59
	v_pk_add_f32 v[66:67], v[40:41], v[66:67] neg_lo:[0,1] neg_hi:[0,1]
	v_mov_b32_e32 v68, v43
	v_mov_b32_e32 v69, v37
	v_mov_b32_e32 v32, v38
	v_pk_add_f32 v[36:37], v[36:37], v[38:39]
	s_mov_b32 s23, 0x3f4a47b2
	v_pk_mul_f32 v[60:61], v[60:61], s[4:5]
	v_pk_add_f32 v[62:63], v[62:63], v[64:65] neg_lo:[0,1] neg_hi:[0,1]
	s_mov_b32 s6, s5
	s_mov_b32 s7, s4
	v_pk_add_f32 v[34:35], v[34:35], v[58:59]
	v_pk_add_f32 v[68:69], v[68:69], v[32:33] neg_lo:[0,1] neg_hi:[0,1]
	v_pk_add_f32 v[38:39], v[52:53], v[36:37]
	s_mov_b32 s20, 0xbf955555
	v_pk_mul_f32 v[52:53], v[66:67], s[22:23]
	s_mov_b32 s24, s23
	s_mov_b32 s25, s22
	v_pk_mul_f32 v[64:65], v[62:63], s[6:7]
	v_pk_add_f32 v[34:35], v[34:35], v[54:55]
	s_mov_b32 s2, 0xbee1c552
	v_pk_mul_f32 v[66:67], v[68:69], s[24:25]
	v_pk_fma_f32 v[36:37], v[36:37], s[20:21], v[38:39] op_sel_hi:[1,0,1]
	v_pk_fma_f32 v[68:69], v[68:69], s[24:25], v[52:53]
	v_pk_fma_f32 v[62:63], v[62:63], s[6:7], v[60:61]
	v_pk_add_f32 v[68:69], v[68:69], v[36:37]
	v_pk_fma_f32 v[62:63], v[34:35], s[2:3], v[62:63] op_sel_hi:[1,0,1]
	v_accvgpr_read_b32 v21, a27
	v_pk_add_f32 v[70:71], v[68:69], v[62:63]
	v_pk_add_f32 v[62:63], v[68:69], v[62:63] neg_lo:[0,1] neg_hi:[0,1]
	v_mov_b32_e32 v68, v70
	v_mov_b32_e32 v69, v63
	;; [unrolled: 1-line block ×4, first 2 shown]
	s_barrier
	ds_write2_b64 v21, v[38:39], v[68:69] offset1:130
	v_pk_add_f32 v[38:39], v[58:59], v[54:55] neg_lo:[0,1] neg_hi:[0,1]
	s_mov_b32 s12, 0xbf5ff5aa
	v_pk_add_f32 v[32:33], v[32:33], v[40:41] neg_lo:[0,1] neg_hi:[0,1]
	s_mov_b32 s14, 0x3f3bfb3b
	v_mov_b32_e32 v40, v66
	v_mov_b32_e32 v41, v53
	;; [unrolled: 1-line block ×6, first 2 shown]
	v_pk_fma_f32 v[40:41], v[32:33], s[14:15], v[40:41] op_sel_hi:[1,0,1] neg_lo:[1,0,1] neg_hi:[1,0,1]
	v_pk_fma_f32 v[42:43], v[38:39], s[12:13], v[42:43] op_sel_hi:[1,0,1] neg_lo:[1,0,1] neg_hi:[1,0,1]
	;; [unrolled: 1-line block ×4, first 2 shown]
	v_pk_add_f32 v[40:41], v[40:41], v[36:37]
	v_pk_fma_f32 v[42:43], v[34:35], s[2:3], v[42:43] op_sel_hi:[1,0,1]
	v_pk_add_f32 v[32:33], v[32:33], v[36:37]
	v_pk_fma_f32 v[34:35], v[34:35], s[2:3], v[38:39] op_sel_hi:[1,0,1]
	v_pk_add_f32 v[54:55], v[40:41], v[42:43]
	v_pk_add_f32 v[40:41], v[40:41], v[42:43] neg_lo:[0,1] neg_hi:[0,1]
	v_pk_add_f32 v[36:37], v[32:33], v[34:35] neg_lo:[0,1] neg_hi:[0,1]
	v_pk_add_f32 v[32:33], v[32:33], v[34:35]
	v_mov_b32_e32 v42, v54
	v_mov_b32_e32 v43, v41
	;; [unrolled: 1-line block ×4, first 2 shown]
	v_add_u32_e32 v19, 0x800, v21
	v_mov_b32_e32 v30, v108
	v_mov_b32_e32 v31, v108
	;; [unrolled: 1-line block ×15, first 2 shown]
	ds_write2_b64 v19, v[42:43], v[34:35] offset0:4 offset1:134
	v_mov_b32_e32 v33, v37
	v_mov_b32_e32 v41, v55
	v_add_u32_e32 v19, 0x1000, v21
	v_mov_b32_e32 v63, v71
	ds_write2_b64 v19, v[32:33], v[40:41] offset0:8 offset1:138
	ds_write_b64 v21, v[62:63] offset:6240
	s_and_saveexec_b64 s[18:19], s[0:1]
	s_cbranch_execz .LBB0_23
; %bb.22:
	v_mov_b32_e32 v52, v3
	v_mov_b32_e32 v53, v7
	v_mov_b32_e32 v54, v45
	v_mov_b32_e32 v55, v14
	v_mov_b32_e32 v34, v5
	v_mov_b32_e32 v35, v3
	v_mov_b32_e32 v38, v11
	v_mov_b32_e32 v39, v1
	v_mov_b32_e32 v41, v6
	v_pk_mul_f32 v[52:53], v[52:53], v[54:55]
	v_mov_b32_e32 v55, v8
	v_mov_b32_e32 v58, v1
	;; [unrolled: 1-line block ×5, first 2 shown]
	v_pk_mul_f32 v[6:7], v[6:7], v[14:15]
	v_pk_mul_f32 v[8:9], v[8:9], v[12:13]
	v_mov_b32_e32 v32, v4
	v_mov_b32_e32 v33, v2
	v_pk_mul_f32 v[34:35], v[34:35], v[50:51]
	v_mov_b32_e32 v36, v10
	v_mov_b32_e32 v37, v0
	;; [unrolled: 3-line block ×3, first 2 shown]
	v_mov_b32_e32 v50, v51
	v_mov_b32_e32 v51, v15
	;; [unrolled: 1-line block ×6, first 2 shown]
	v_pk_mul_f32 v[58:59], v[58:59], v[60:61]
	v_mov_b32_e32 v12, v8
	v_mov_b32_e32 v13, v6
	;; [unrolled: 1-line block ×3, first 2 shown]
	v_mul_f32_e32 v8, v11, v96
	v_accvgpr_read_b32 v9, a25
	v_mul_f32_e32 v5, v5, v18
	v_pk_add_f32 v[6:7], v[12:13], v[6:7]
	v_fma_f32 v8, v10, v9, -v8
	v_fma_f32 v4, v4, v20, -v5
	v_pk_fma_f32 v[14:15], v[36:37], v[46:47], v[38:39]
	v_pk_fma_f32 v[18:19], v[36:37], v[46:47], v[38:39] neg_lo:[0,0,1] neg_hi:[0,0,1]
	v_pk_fma_f32 v[20:21], v[32:33], v[44:45], v[34:35]
	v_pk_fma_f32 v[32:33], v[32:33], v[44:45], v[34:35] neg_lo:[0,0,1] neg_hi:[0,0,1]
	;; [unrolled: 2-line block ×4, first 2 shown]
	v_add_f32_e32 v11, v8, v4
	v_mov_b32_e32 v10, v7
	v_mov_b32_e32 v15, v19
	;; [unrolled: 1-line block ×7, first 2 shown]
	v_pk_add_f32 v[12:13], v[6:7], v[10:11]
	v_pk_add_f32 v[38:39], v[14:15], v[20:21]
	;; [unrolled: 1-line block ×3, first 2 shown]
	v_pk_add_f32 v[4:5], v[4:5], v[8:9] neg_lo:[0,1] neg_hi:[0,1]
	v_mov_b32_e32 v8, v33
	v_mov_b32_e32 v9, v2
	;; [unrolled: 1-line block ×6, first 2 shown]
	v_pk_add_f32 v[0:1], v[8:9], v[2:3] neg_lo:[0,1] neg_hi:[0,1]
	v_mov_b32_e32 v2, v37
	v_mov_b32_e32 v3, v7
	;; [unrolled: 1-line block ×4, first 2 shown]
	v_pk_add_f32 v[46:47], v[10:11], v[12:13] neg_lo:[0,1] neg_hi:[0,1]
	v_mov_b32_e32 v10, v38
	v_mov_b32_e32 v13, v41
	v_pk_add_f32 v[2:3], v[2:3], v[8:9] neg_lo:[0,1] neg_hi:[0,1]
	v_pk_add_f32 v[42:43], v[38:39], v[40:41] neg_lo:[0,1] neg_hi:[0,1]
	v_pk_add_f32 v[48:49], v[12:13], v[10:11]
	v_mov_b32_e32 v41, v39
	v_mov_b32_e32 v14, v0
	;; [unrolled: 1-line block ×5, first 2 shown]
	v_pk_add_f32 v[38:39], v[40:41], v[48:49]
	v_mov_b32_e32 v6, v4
	v_mov_b32_e32 v7, v1
	;; [unrolled: 1-line block ×4, first 2 shown]
	v_pk_add_f32 v[14:15], v[14:15], v[18:19] neg_lo:[0,1] neg_hi:[0,1]
	v_pk_mul_f32 v[46:47], v[46:47], s[22:23]
	v_pk_add_f32 v[16:17], v[16:17], v[38:39]
	v_pk_add_f32 v[6:7], v[6:7], v[8:9] neg_lo:[0,1] neg_hi:[0,1]
	v_pk_mul_f32 v[14:15], v[14:15], s[4:5]
	v_pk_add_f32 v[0:1], v[0:1], v[2:3]
	v_pk_mul_f32 v[44:45], v[42:43], s[24:25]
	v_pk_fma_f32 v[42:43], v[42:43], s[24:25], v[46:47]
	v_pk_fma_f32 v[38:39], v[38:39], s[20:21], v[16:17] op_sel_hi:[1,0,1]
	v_pk_mul_f32 v[8:9], v[6:7], s[6:7]
	v_pk_fma_f32 v[6:7], v[6:7], s[6:7], v[14:15]
	v_pk_add_f32 v[0:1], v[0:1], v[4:5]
	v_pk_add_f32 v[40:41], v[42:43], v[38:39]
	v_pk_fma_f32 v[6:7], v[0:1], s[2:3], v[6:7] op_sel_hi:[1,0,1]
	v_accvgpr_read_b32 v32, a26
	v_pk_add_f32 v[18:19], v[40:41], v[6:7] neg_lo:[0,1] neg_hi:[0,1]
	v_pk_add_f32 v[6:7], v[40:41], v[6:7]
	v_mov_b32_e32 v21, v19
	v_mov_b32_e32 v20, v6
	v_add_u32_e32 v6, 0x1c00, v32
	v_pk_add_f32 v[2:3], v[2:3], v[4:5] neg_lo:[0,1] neg_hi:[0,1]
	v_mov_b32_e32 v4, v8
	v_mov_b32_e32 v5, v15
	v_mov_b32_e32 v15, v9
	ds_write2_b64 v6, v[16:17], v[20:21] offset0:14 offset1:144
	v_mov_b32_e32 v16, v44
	v_mov_b32_e32 v17, v47
	v_pk_add_f32 v[10:11], v[12:13], v[10:11] neg_lo:[0,1] neg_hi:[0,1]
	v_pk_fma_f32 v[4:5], v[2:3], s[12:13], v[4:5] op_sel_hi:[1,0,1] neg_lo:[1,0,1] neg_hi:[1,0,1]
	v_pk_fma_f32 v[2:3], v[2:3], s[12:13], v[14:15] op_sel_hi:[1,0,1] neg_lo:[0,0,1] neg_hi:[0,0,1]
	v_mov_b32_e32 v47, v45
	v_pk_fma_f32 v[12:13], v[10:11], s[14:15], v[16:17] op_sel_hi:[1,0,1] neg_lo:[1,0,1] neg_hi:[1,0,1]
	v_pk_fma_f32 v[4:5], v[0:1], s[2:3], v[4:5] op_sel_hi:[1,0,1]
	v_pk_fma_f32 v[0:1], v[0:1], s[2:3], v[2:3] op_sel_hi:[1,0,1]
	v_pk_fma_f32 v[2:3], v[10:11], s[14:15], v[46:47] op_sel_hi:[1,0,1] neg_lo:[0,0,1] neg_hi:[0,0,1]
	v_pk_add_f32 v[12:13], v[12:13], v[38:39]
	v_pk_add_f32 v[2:3], v[2:3], v[38:39]
	v_pk_add_f32 v[16:17], v[12:13], v[4:5] neg_lo:[0,1] neg_hi:[0,1]
	v_pk_add_f32 v[4:5], v[12:13], v[4:5]
	v_pk_add_f32 v[8:9], v[2:3], v[0:1]
	v_pk_add_f32 v[0:1], v[2:3], v[0:1] neg_lo:[0,1] neg_hi:[0,1]
	v_mov_b32_e32 v12, v4
	v_mov_b32_e32 v13, v17
	;; [unrolled: 1-line block ×4, first 2 shown]
	v_add_u32_e32 v0, 0x2400, v32
	ds_write2_b64 v0, v[12:13], v[2:3] offset0:18 offset1:148
	v_mov_b32_e32 v9, v1
	v_mov_b32_e32 v17, v5
	v_add_u32_e32 v0, 0x2c00, v32
	v_mov_b32_e32 v19, v7
	ds_write2_b64 v0, v[8:9], v[16:17] offset0:22 offset1:152
	ds_write_b64 v32, v[18:19] offset:13520
.LBB0_23:
	s_or_b64 exec, exec, s[18:19]
	v_add_u32_e32 v34, 0x1600, v92
	s_waitcnt lgkmcnt(0)
	s_barrier
	ds_read2_b64 v[0:3], v34 offset0:24 offset1:206
	v_add_u32_e32 v35, 0x2000, v92
	ds_read2_b64 v[4:7], v92 offset1:182
	ds_read2_b64 v[8:11], v35 offset0:68 offset1:250
	v_add_u32_e32 v36, 0xa00, v92
	s_waitcnt lgkmcnt(2)
	v_pk_mul_f32 v[16:17], v[108:109], v[2:3]
	v_add_u32_e32 v37, 0x2c00, v92
	v_pk_fma_f32 v[18:19], v[30:31], v[2:3], v[16:17] op_sel:[0,0,1] op_sel_hi:[1,1,0]
	v_pk_fma_f32 v[2:3], v[30:31], v[2:3], v[16:17] op_sel:[0,0,1] op_sel_hi:[1,1,0] neg_lo:[0,0,1] neg_hi:[0,0,1]
	s_waitcnt lgkmcnt(0)
	v_pk_mul_f32 v[30:31], v[104:105], v[10:11]
	v_mov_b32_e32 v19, v3
	v_pk_add_f32 v[16:17], v[4:5], v[18:19] neg_lo:[0,1] neg_hi:[0,1]
	v_pk_mul_f32 v[2:3], v[106:107], v[8:9]
	v_pk_fma_f32 v[18:19], v[4:5], 2.0, v[16:17] op_sel_hi:[1,0,1] neg_lo:[0,0,1] neg_hi:[0,0,1]
	v_pk_fma_f32 v[4:5], v[28:29], v[8:9], v[2:3] op_sel:[0,0,1] op_sel_hi:[1,1,0]
	v_pk_fma_f32 v[2:3], v[28:29], v[8:9], v[2:3] op_sel:[0,0,1] op_sel_hi:[1,1,0] neg_lo:[0,0,1] neg_hi:[0,0,1]
	v_pk_fma_f32 v[32:33], v[26:27], v[10:11], v[30:31] op_sel:[0,0,1] op_sel_hi:[1,1,0]
	v_mov_b32_e32 v5, v3
	v_pk_add_f32 v[20:21], v[6:7], v[4:5] neg_lo:[0,1] neg_hi:[0,1]
	ds_read2_b64 v[2:5], v36 offset0:44 offset1:226
	ds_write_b64 v92, v[18:19]
	v_pk_fma_f32 v[28:29], v[6:7], 2.0, v[20:21] op_sel_hi:[1,0,1] neg_lo:[0,0,1] neg_hi:[0,0,1]
	ds_read2_b64 v[6:9], v37 offset0:48 offset1:230
	v_pk_fma_f32 v[10:11], v[26:27], v[10:11], v[30:31] op_sel:[0,0,1] op_sel_hi:[1,1,0] neg_lo:[0,0,1] neg_hi:[0,0,1]
	v_accvgpr_read_b32 v38, a4
	v_mov_b32_e32 v33, v11
	s_waitcnt lgkmcnt(2)
	v_pk_add_f32 v[10:11], v[2:3], v[32:33] neg_lo:[0,1] neg_hi:[0,1]
	s_waitcnt lgkmcnt(0)
	v_pk_mul_f32 v[18:19], v[102:103], v[6:7]
	v_pk_fma_f32 v[2:3], v[2:3], 2.0, v[10:11] op_sel_hi:[1,0,1] neg_lo:[0,0,1] neg_hi:[0,0,1]
	v_pk_fma_f32 v[26:27], v[24:25], v[6:7], v[18:19] op_sel:[0,0,1] op_sel_hi:[1,1,0]
	v_pk_fma_f32 v[6:7], v[24:25], v[6:7], v[18:19] op_sel:[0,0,1] op_sel_hi:[1,1,0] neg_lo:[0,0,1] neg_hi:[0,0,1]
	v_pk_mul_f32 v[18:19], v[100:101], v[8:9]
	v_mov_b32_e32 v27, v7
	v_pk_fma_f32 v[24:25], v[22:23], v[8:9], v[18:19] op_sel:[0,0,1] op_sel_hi:[1,1,0]
	v_pk_fma_f32 v[8:9], v[22:23], v[8:9], v[18:19] op_sel:[0,0,1] op_sel_hi:[1,1,0] neg_lo:[0,0,1] neg_hi:[0,0,1]
	v_add_u32_e32 v18, 0x1c00, v92
	v_mov_b32_e32 v25, v9
	ds_write2_b64 v18, v[16:17], v[20:21] offset0:14 offset1:196
	v_add_u32_e32 v16, 0x400, v92
	v_pk_add_f32 v[6:7], v[4:5], v[26:27] neg_lo:[0,1] neg_hi:[0,1]
	v_pk_add_f32 v[8:9], v[0:1], v[24:25] neg_lo:[0,1] neg_hi:[0,1]
	ds_write2_b64 v16, v[28:29], v[2:3] offset0:54 offset1:236
	v_add_u32_e32 v2, 0x2600, v92
	v_pk_fma_f32 v[4:5], v[4:5], 2.0, v[6:7] op_sel_hi:[1,0,1] neg_lo:[0,0,1] neg_hi:[0,0,1]
	v_pk_fma_f32 v[0:1], v[0:1], 2.0, v[8:9] op_sel_hi:[1,0,1] neg_lo:[0,0,1] neg_hi:[0,0,1]
	ds_write2_b64 v2, v[10:11], v[6:7] offset0:58 offset1:240
	v_add_u32_e32 v2, 0x1000, v92
	ds_write2_b64 v2, v[4:5], v[0:1] offset0:34 offset1:216
	ds_write_b64 v92, v[8:9] offset:13104
	s_waitcnt lgkmcnt(0)
	s_barrier
	ds_read2_b64 v[0:3], v92 offset1:182
	v_mad_u64_u32 v[14:15], s[0:1], s10, v38, 0
	v_mov_b32_e32 v4, v15
	v_accvgpr_read_b32 v6, a20
	v_mad_u64_u32 v[4:5], s[0:1], s11, v38, v[4:5]
	v_accvgpr_read_b32 v7, a21
	v_mov_b32_e32 v15, v4
	s_waitcnt lgkmcnt(0)
	v_mul_f32_e32 v4, v7, v1
	v_fmac_f32_e32 v4, v6, v0
	v_mul_f32_e32 v0, v7, v0
	s_mov_b32 s0, 0x12012012
	v_fma_f32 v0, v6, v1, -v0
	v_cvt_f64_f32_e32 v[4:5], v4
	s_mov_b32 s1, 0x3f420120
	v_cvt_f64_f32_e32 v[0:1], v0
	v_mul_f64 v[4:5], v[4:5], s[0:1]
	v_mul_f64 v[0:1], v[0:1], s[0:1]
	v_accvgpr_read_b32 v7, a5
	v_cvt_f32_f64_e32 v4, v[4:5]
	v_cvt_f32_f64_e32 v5, v[0:1]
	v_mad_u64_u32 v[0:1], s[2:3], s8, v7, 0
	v_mov_b32_e32 v6, v1
	v_mov_b32_e32 v12, s16
	;; [unrolled: 1-line block ×3, first 2 shown]
	v_mad_u64_u32 v[6:7], s[2:3], s9, v7, v[6:7]
	v_accvgpr_read_b32 v8, a18
	v_mov_b32_e32 v1, v6
	v_lshl_add_u64 v[6:7], v[14:15], 3, v[12:13]
	v_accvgpr_read_b32 v9, a19
	v_lshl_add_u64 v[6:7], v[0:1], 3, v[6:7]
	v_mul_f32_e32 v0, v9, v3
	v_fmac_f32_e32 v0, v8, v2
	v_cvt_f64_f32_e32 v[0:1], v0
	v_mul_f64 v[0:1], v[0:1], s[0:1]
	global_store_dwordx2 v[6:7], v[4:5], off
	v_cvt_f32_f64_e32 v4, v[0:1]
	v_mul_f32_e32 v0, v9, v2
	v_fma_f32 v0, v8, v3, -v0
	v_cvt_f64_f32_e32 v[0:1], v0
	v_mul_f64 v[0:1], v[0:1], s[0:1]
	v_cvt_f32_f64_e32 v5, v[0:1]
	ds_read2_b64 v[0:3], v36 offset0:44 offset1:226
	v_mov_b32_e32 v8, 0x5b0
	v_mad_u64_u32 v[6:7], s[2:3], s8, v8, v[6:7]
	s_mul_i32 s4, s9, 0x5b0
	v_accvgpr_read_b32 v10, a10
	v_add_u32_e32 v7, s4, v7
	v_accvgpr_read_b32 v11, a11
	global_store_dwordx2 v[6:7], v[4:5], off
	s_waitcnt lgkmcnt(0)
	v_mul_f32_e32 v4, v11, v1
	v_fmac_f32_e32 v4, v10, v0
	v_mul_f32_e32 v0, v11, v0
	v_fma_f32 v0, v10, v1, -v0
	v_cvt_f64_f32_e32 v[4:5], v4
	v_cvt_f64_f32_e32 v[0:1], v0
	v_accvgpr_read_b32 v10, a16
	v_mul_f64 v[4:5], v[4:5], s[0:1]
	v_mul_f64 v[0:1], v[0:1], s[0:1]
	v_accvgpr_read_b32 v11, a17
	v_cvt_f32_f64_e32 v4, v[4:5]
	v_cvt_f32_f64_e32 v5, v[0:1]
	v_mul_f32_e32 v0, v11, v3
	v_fmac_f32_e32 v0, v10, v2
	v_mad_u64_u32 v[6:7], s[2:3], s8, v8, v[6:7]
	v_cvt_f64_f32_e32 v[0:1], v0
	v_add_u32_e32 v7, s4, v7
	v_mul_f64 v[0:1], v[0:1], s[0:1]
	global_store_dwordx2 v[6:7], v[4:5], off
	v_cvt_f32_f64_e32 v4, v[0:1]
	v_mul_f32_e32 v0, v11, v2
	v_fma_f32 v0, v10, v3, -v0
	v_cvt_f64_f32_e32 v[0:1], v0
	v_mul_f64 v[0:1], v[0:1], s[0:1]
	v_cvt_f32_f64_e32 v5, v[0:1]
	ds_read2_b64 v[0:3], v34 offset0:24 offset1:206
	v_mad_u64_u32 v[6:7], s[2:3], s8, v8, v[6:7]
	v_add_u32_e32 v7, s4, v7
	v_accvgpr_read_b32 v11, a9
	global_store_dwordx2 v[6:7], v[4:5], off
	v_accvgpr_read_b32 v10, a8
	s_waitcnt lgkmcnt(0)
	v_mul_f32_e32 v4, v11, v1
	v_fmac_f32_e32 v4, v10, v0
	v_mul_f32_e32 v0, v11, v0
	v_fma_f32 v0, v10, v1, -v0
	v_cvt_f64_f32_e32 v[4:5], v4
	v_cvt_f64_f32_e32 v[0:1], v0
	v_accvgpr_read_b32 v10, a14
	v_mul_f64 v[4:5], v[4:5], s[0:1]
	v_mul_f64 v[0:1], v[0:1], s[0:1]
	v_accvgpr_read_b32 v11, a15
	v_cvt_f32_f64_e32 v4, v[4:5]
	v_cvt_f32_f64_e32 v5, v[0:1]
	v_mul_f32_e32 v0, v11, v3
	v_fmac_f32_e32 v0, v10, v2
	v_mad_u64_u32 v[6:7], s[2:3], s8, v8, v[6:7]
	v_cvt_f64_f32_e32 v[0:1], v0
	v_add_u32_e32 v7, s4, v7
	v_mul_f64 v[0:1], v[0:1], s[0:1]
	global_store_dwordx2 v[6:7], v[4:5], off
	v_cvt_f32_f64_e32 v4, v[0:1]
	v_mul_f32_e32 v0, v11, v2
	v_fma_f32 v0, v10, v3, -v0
	v_cvt_f64_f32_e32 v[0:1], v0
	v_mul_f64 v[0:1], v[0:1], s[0:1]
	v_cvt_f32_f64_e32 v5, v[0:1]
	ds_read2_b64 v[0:3], v35 offset0:68 offset1:250
	v_mad_u64_u32 v[6:7], s[2:3], s8, v8, v[6:7]
	v_add_u32_e32 v7, s4, v7
	v_accvgpr_read_b32 v11, a7
	global_store_dwordx2 v[6:7], v[4:5], off
	v_accvgpr_read_b32 v10, a6
	;; [unrolled: 32-line block ×3, first 2 shown]
	s_waitcnt lgkmcnt(0)
	v_mul_f32_e32 v4, v11, v1
	v_fmac_f32_e32 v4, v10, v0
	v_mul_f32_e32 v0, v11, v0
	v_fma_f32 v0, v10, v1, -v0
	v_cvt_f64_f32_e32 v[4:5], v4
	v_cvt_f64_f32_e32 v[0:1], v0
	v_mul_f64 v[4:5], v[4:5], s[0:1]
	v_mul_f64 v[0:1], v[0:1], s[0:1]
	v_cvt_f32_f64_e32 v4, v[4:5]
	v_cvt_f32_f64_e32 v5, v[0:1]
	v_mad_u64_u32 v[0:1], s[2:3], s8, v8, v[6:7]
	v_add_u32_e32 v1, s4, v1
	v_accvgpr_read_b32 v7, a3
	global_store_dwordx2 v[0:1], v[4:5], off
	v_accvgpr_read_b32 v6, a2
	v_mul_f32_e32 v4, v7, v3
	v_fmac_f32_e32 v4, v6, v2
	v_mul_f32_e32 v2, v7, v2
	v_fma_f32 v2, v6, v3, -v2
	v_cvt_f64_f32_e32 v[4:5], v4
	v_cvt_f64_f32_e32 v[2:3], v2
	v_mul_f64 v[4:5], v[4:5], s[0:1]
	v_mul_f64 v[2:3], v[2:3], s[0:1]
	v_mad_u64_u32 v[0:1], s[0:1], s8, v8, v[0:1]
	v_cvt_f32_f64_e32 v4, v[4:5]
	v_cvt_f32_f64_e32 v5, v[2:3]
	v_add_u32_e32 v1, s4, v1
	global_store_dwordx2 v[0:1], v[4:5], off
.LBB0_24:
	s_endpgm
	.section	.rodata,"a",@progbits
	.p2align	6, 0x0
	.amdhsa_kernel bluestein_single_back_len1820_dim1_sp_op_CI_CI
		.amdhsa_group_segment_fixed_size 14560
		.amdhsa_private_segment_fixed_size 0
		.amdhsa_kernarg_size 104
		.amdhsa_user_sgpr_count 2
		.amdhsa_user_sgpr_dispatch_ptr 0
		.amdhsa_user_sgpr_queue_ptr 0
		.amdhsa_user_sgpr_kernarg_segment_ptr 1
		.amdhsa_user_sgpr_dispatch_id 0
		.amdhsa_user_sgpr_kernarg_preload_length 0
		.amdhsa_user_sgpr_kernarg_preload_offset 0
		.amdhsa_user_sgpr_private_segment_size 0
		.amdhsa_uses_dynamic_stack 0
		.amdhsa_enable_private_segment 0
		.amdhsa_system_sgpr_workgroup_id_x 1
		.amdhsa_system_sgpr_workgroup_id_y 0
		.amdhsa_system_sgpr_workgroup_id_z 0
		.amdhsa_system_sgpr_workgroup_info 0
		.amdhsa_system_vgpr_workitem_id 0
		.amdhsa_next_free_vgpr 304
		.amdhsa_next_free_sgpr 54
		.amdhsa_accum_offset 256
		.amdhsa_reserve_vcc 1
		.amdhsa_float_round_mode_32 0
		.amdhsa_float_round_mode_16_64 0
		.amdhsa_float_denorm_mode_32 3
		.amdhsa_float_denorm_mode_16_64 3
		.amdhsa_dx10_clamp 1
		.amdhsa_ieee_mode 1
		.amdhsa_fp16_overflow 0
		.amdhsa_tg_split 0
		.amdhsa_exception_fp_ieee_invalid_op 0
		.amdhsa_exception_fp_denorm_src 0
		.amdhsa_exception_fp_ieee_div_zero 0
		.amdhsa_exception_fp_ieee_overflow 0
		.amdhsa_exception_fp_ieee_underflow 0
		.amdhsa_exception_fp_ieee_inexact 0
		.amdhsa_exception_int_div_zero 0
	.end_amdhsa_kernel
	.text
.Lfunc_end0:
	.size	bluestein_single_back_len1820_dim1_sp_op_CI_CI, .Lfunc_end0-bluestein_single_back_len1820_dim1_sp_op_CI_CI
                                        ; -- End function
	.section	.AMDGPU.csdata,"",@progbits
; Kernel info:
; codeLenInByte = 16740
; NumSgprs: 60
; NumVgprs: 256
; NumAgprs: 48
; TotalNumVgprs: 304
; ScratchSize: 0
; MemoryBound: 0
; FloatMode: 240
; IeeeMode: 1
; LDSByteSize: 14560 bytes/workgroup (compile time only)
; SGPRBlocks: 7
; VGPRBlocks: 37
; NumSGPRsForWavesPerEU: 60
; NumVGPRsForWavesPerEU: 304
; AccumOffset: 256
; Occupancy: 1
; WaveLimiterHint : 1
; COMPUTE_PGM_RSRC2:SCRATCH_EN: 0
; COMPUTE_PGM_RSRC2:USER_SGPR: 2
; COMPUTE_PGM_RSRC2:TRAP_HANDLER: 0
; COMPUTE_PGM_RSRC2:TGID_X_EN: 1
; COMPUTE_PGM_RSRC2:TGID_Y_EN: 0
; COMPUTE_PGM_RSRC2:TGID_Z_EN: 0
; COMPUTE_PGM_RSRC2:TIDIG_COMP_CNT: 0
; COMPUTE_PGM_RSRC3_GFX90A:ACCUM_OFFSET: 63
; COMPUTE_PGM_RSRC3_GFX90A:TG_SPLIT: 0
	.text
	.p2alignl 6, 3212836864
	.fill 256, 4, 3212836864
	.type	__hip_cuid_346c64a03aef4ff2,@object ; @__hip_cuid_346c64a03aef4ff2
	.section	.bss,"aw",@nobits
	.globl	__hip_cuid_346c64a03aef4ff2
__hip_cuid_346c64a03aef4ff2:
	.byte	0                               ; 0x0
	.size	__hip_cuid_346c64a03aef4ff2, 1

	.ident	"AMD clang version 19.0.0git (https://github.com/RadeonOpenCompute/llvm-project roc-6.4.0 25133 c7fe45cf4b819c5991fe208aaa96edf142730f1d)"
	.section	".note.GNU-stack","",@progbits
	.addrsig
	.addrsig_sym __hip_cuid_346c64a03aef4ff2
	.amdgpu_metadata
---
amdhsa.kernels:
  - .agpr_count:     48
    .args:
      - .actual_access:  read_only
        .address_space:  global
        .offset:         0
        .size:           8
        .value_kind:     global_buffer
      - .actual_access:  read_only
        .address_space:  global
        .offset:         8
        .size:           8
        .value_kind:     global_buffer
      - .actual_access:  read_only
        .address_space:  global
        .offset:         16
        .size:           8
        .value_kind:     global_buffer
      - .actual_access:  read_only
        .address_space:  global
        .offset:         24
        .size:           8
        .value_kind:     global_buffer
      - .actual_access:  read_only
        .address_space:  global
        .offset:         32
        .size:           8
        .value_kind:     global_buffer
      - .offset:         40
        .size:           8
        .value_kind:     by_value
      - .address_space:  global
        .offset:         48
        .size:           8
        .value_kind:     global_buffer
      - .address_space:  global
        .offset:         56
        .size:           8
        .value_kind:     global_buffer
      - .address_space:  global
        .offset:         64
        .size:           8
        .value_kind:     global_buffer
      - .address_space:  global
        .offset:         72
        .size:           8
        .value_kind:     global_buffer
      - .offset:         80
        .size:           4
        .value_kind:     by_value
      - .address_space:  global
        .offset:         88
        .size:           8
        .value_kind:     global_buffer
      - .address_space:  global
        .offset:         96
        .size:           8
        .value_kind:     global_buffer
    .group_segment_fixed_size: 14560
    .kernarg_segment_align: 8
    .kernarg_segment_size: 104
    .language:       OpenCL C
    .language_version:
      - 2
      - 0
    .max_flat_workgroup_size: 182
    .name:           bluestein_single_back_len1820_dim1_sp_op_CI_CI
    .private_segment_fixed_size: 0
    .sgpr_count:     60
    .sgpr_spill_count: 0
    .symbol:         bluestein_single_back_len1820_dim1_sp_op_CI_CI.kd
    .uniform_work_group_size: 1
    .uses_dynamic_stack: false
    .vgpr_count:     304
    .vgpr_spill_count: 0
    .wavefront_size: 64
amdhsa.target:   amdgcn-amd-amdhsa--gfx950
amdhsa.version:
  - 1
  - 2
...

	.end_amdgpu_metadata
